;; amdgpu-corpus repo=ROCm/rocFFT kind=compiled arch=gfx906 opt=O3
	.text
	.amdgcn_target "amdgcn-amd-amdhsa--gfx906"
	.amdhsa_code_object_version 6
	.protected	bluestein_single_fwd_len1920_dim1_sp_op_CI_CI ; -- Begin function bluestein_single_fwd_len1920_dim1_sp_op_CI_CI
	.globl	bluestein_single_fwd_len1920_dim1_sp_op_CI_CI
	.p2align	8
	.type	bluestein_single_fwd_len1920_dim1_sp_op_CI_CI,@function
bluestein_single_fwd_len1920_dim1_sp_op_CI_CI: ; @bluestein_single_fwd_len1920_dim1_sp_op_CI_CI
; %bb.0:
	s_load_dwordx4 s[8:11], s[4:5], 0x28
	v_mul_u32_u24_e32 v1, 0x223, v0
	v_lshrrev_b32_e32 v8, 16, v1
	v_lshl_add_u32 v110, s6, 1, v8
	v_mov_b32_e32 v111, 0
	s_waitcnt lgkmcnt(0)
	v_cmp_gt_u64_e32 vcc, s[8:9], v[110:111]
	s_and_saveexec_b64 s[0:1], vcc
	s_cbranch_execz .LBB0_23
; %bb.1:
	s_load_dwordx4 s[0:3], s[4:5], 0x18
	v_mul_lo_u16_e32 v1, 0x78, v8
	v_sub_u16_e32 v139, v0, v1
	v_lshlrev_b32_e32 v31, 3, v139
	v_or_b32_e32 v140, 0x180, v139
	s_waitcnt lgkmcnt(0)
	s_load_dwordx4 s[12:15], s[0:1], 0x0
	v_or_b32_e32 v141, 0x300, v139
	s_movk_i32 s8, 0x1000
	v_or_b32_e32 v142, 0x480, v139
	v_or_b32_e32 v143, 0x600, v139
	s_waitcnt lgkmcnt(0)
	v_mad_u64_u32 v[0:1], s[0:1], s14, v110, 0
	v_mad_u64_u32 v[2:3], s[0:1], s12, v139, 0
	v_lshlrev_b32_e32 v77, 3, v141
	v_lshlrev_b32_e32 v76, 3, v142
	v_mad_u64_u32 v[4:5], s[0:1], s15, v110, v[1:2]
	s_load_dwordx2 s[14:15], s[4:5], 0x0
	s_waitcnt lgkmcnt(0)
	global_load_dwordx2 v[98:99], v31, s[14:15]
	global_load_dwordx2 v[92:93], v31, s[14:15] offset:1536
	global_load_dwordx2 v[90:91], v31, s[14:15] offset:3072
	v_mad_u64_u32 v[5:6], s[0:1], s13, v139, v[3:4]
	v_mov_b32_e32 v1, v4
	v_lshlrev_b64 v[0:1], 3, v[0:1]
	v_mov_b32_e32 v6, s11
	v_mov_b32_e32 v3, v5
	v_add_co_u32_e32 v27, vcc, s10, v0
	v_addc_co_u32_e32 v28, vcc, v6, v1, vcc
	v_lshlrev_b64 v[0:1], 3, v[2:3]
	v_mov_b32_e32 v2, s15
	v_add_co_u32_e32 v0, vcc, v27, v0
	v_addc_co_u32_e32 v1, vcc, v28, v1, vcc
	v_add_co_u32_e32 v88, vcc, s14, v31
	v_addc_co_u32_e32 v89, vcc, 0, v2, vcc
	v_mad_u64_u32 v[2:3], s[6:7], s12, v140, 0
	s_mul_i32 s0, s13, 0xc0
	s_mul_hi_u32 s1, s12, 0xc0
	s_add_i32 s1, s1, s0
	s_mul_i32 s0, s12, 0xc0
	s_lshl_b64 s[16:17], s[0:1], 3
	v_mad_u64_u32 v[3:4], s[0:1], s13, v140, v[3:4]
	v_mov_b32_e32 v5, s17
	v_add_co_u32_e32 v4, vcc, s16, v0
	v_lshlrev_b64 v[2:3], 3, v[2:3]
	s_mul_i32 s0, s13, 0xc00
	s_mul_hi_u32 s1, s12, 0xc00
	v_addc_co_u32_e32 v5, vcc, v1, v5, vcc
	s_add_i32 s6, s1, s0
	v_mad_u64_u32 v[9:10], s[0:1], s12, v141, 0
	v_add_co_u32_e32 v2, vcc, v27, v2
	v_addc_co_u32_e32 v3, vcc, v28, v3, vcc
	s_mul_i32 s7, s12, 0xc00
	v_mov_b32_e32 v7, s6
	v_add_co_u32_e32 v6, vcc, s7, v4
	v_addc_co_u32_e32 v7, vcc, v5, v7, vcc
	global_load_dwordx2 v[11:12], v[0:1], off
	global_load_dwordx2 v[13:14], v[4:5], off
	;; [unrolled: 1-line block ×4, first 2 shown]
	v_mov_b32_e32 v0, v10
	v_mad_u64_u32 v[2:3], s[0:1], s13, v141, v[0:1]
	v_add_co_u32_e32 v0, vcc, s8, v88
	v_mov_b32_e32 v10, v2
	v_lshlrev_b64 v[2:3], 3, v[9:10]
	v_addc_co_u32_e32 v1, vcc, 0, v89, vcc
	v_add_co_u32_e32 v2, vcc, v27, v2
	v_addc_co_u32_e32 v3, vcc, v28, v3, vcc
	global_load_dwordx2 v[9:10], v[2:3], off
	v_mad_u64_u32 v[2:3], s[0:1], s12, v142, 0
	v_mov_b32_e32 v5, s6
	global_load_dwordx2 v[100:101], v77, s[14:15]
	v_mad_u64_u32 v[3:4], s[0:1], s13, v142, v[3:4]
	v_add_co_u32_e32 v4, vcc, s7, v6
	v_lshlrev_b64 v[2:3], 3, v[2:3]
	v_addc_co_u32_e32 v5, vcc, v7, v5, vcc
	v_mad_u64_u32 v[6:7], s[0:1], s12, v143, 0
	v_add_co_u32_e32 v2, vcc, v27, v2
	v_addc_co_u32_e32 v3, vcc, v28, v3, vcc
	global_load_dwordx2 v[108:109], v[0:1], off offset:512
	global_load_dwordx2 v[94:95], v[0:1], off offset:3584
	global_load_dwordx2 v[19:20], v[4:5], off
	global_load_dwordx2 v[21:22], v[2:3], off
	v_mov_b32_e32 v2, s6
	v_add_co_u32_e32 v4, vcc, s7, v4
	v_addc_co_u32_e32 v5, vcc, v5, v2, vcc
	v_mov_b32_e32 v2, v7
	v_mad_u64_u32 v[25:26], s[0:1], s13, v143, v[2:3]
	s_movk_i32 s8, 0x2000
	v_add_co_u32_e32 v2, vcc, s8, v88
	v_mov_b32_e32 v7, v25
	v_lshlrev_b64 v[6:7], 3, v[6:7]
	v_addc_co_u32_e32 v3, vcc, 0, v89, vcc
	v_add_co_u32_e32 v6, vcc, v27, v6
	v_addc_co_u32_e32 v7, vcc, v28, v7, vcc
	global_load_dwordx2 v[96:97], v76, s[14:15]
	global_load_dwordx2 v[23:24], v[4:5], off
	global_load_dwordx2 v[25:26], v[6:7], off
	v_mov_b32_e32 v7, s6
	v_add_co_u32_e32 v6, vcc, s7, v4
	v_lshlrev_b32_e32 v78, 3, v143
	v_addc_co_u32_e32 v7, vcc, v5, v7, vcc
	s_movk_i32 s0, 0x3000
	global_load_dwordx2 v[106:107], v[2:3], off offset:2560
	global_load_dwordx2 v[102:103], v78, s[14:15]
	v_add_co_u32_e32 v4, vcc, s0, v88
	v_addc_co_u32_e32 v5, vcc, 0, v89, vcc
	global_load_dwordx2 v[27:28], v[6:7], off
	global_load_dwordx2 v[104:105], v[4:5], off offset:1536
	v_and_b32_e32 v8, 1, v8
	v_mov_b32_e32 v29, 0x780
	v_cmp_eq_u32_e32 vcc, 1, v8
	v_cndmask_b32_e32 v146, 0, v29, vcc
	v_or_b32_e32 v8, v146, v139
	v_lshlrev_b32_e32 v145, 3, v8
	s_waitcnt vmcnt(16)
	v_mul_f32_e32 v29, v12, v99
	v_mul_f32_e32 v8, v11, v99
	v_fmac_f32_e32 v29, v11, v98
	v_fma_f32 v30, v12, v98, -v8
	s_waitcnt vmcnt(15)
	v_mul_f32_e32 v11, v14, v93
	v_mul_f32_e32 v8, v13, v93
	v_fmac_f32_e32 v11, v13, v92
	v_fma_f32 v12, v14, v92, -v8
	s_waitcnt vmcnt(14)
	v_mul_f32_e32 v13, v16, v91
	v_mul_f32_e32 v8, v15, v91
	v_lshl_add_u32 v144, v146, 3, v31
	v_fmac_f32_e32 v13, v15, v90
	v_fma_f32 v14, v16, v90, -v8
	s_load_dwordx2 s[6:7], s[4:5], 0x38
	s_load_dwordx4 s[8:11], s[2:3], 0x0
	ds_write_b64 v145, v[29:30]
	ds_write2st64_b64 v144, v[11:12], v[13:14] offset0:3 offset1:6
	s_movk_i32 s0, 0x48
	v_cmp_gt_u16_e64 s[0:1], s0, v139
	s_waitcnt vmcnt(10)
	v_mul_f32_e32 v8, v17, v109
	v_fma_f32 v12, v18, v108, -v8
	v_mul_f32_e32 v8, v10, v101
	v_mul_f32_e32 v11, v18, v109
	v_fmac_f32_e32 v8, v9, v100
	v_mul_f32_e32 v9, v9, v101
	v_fmac_f32_e32 v11, v17, v108
	v_fma_f32 v9, v10, v100, -v9
	ds_write2st64_b64 v144, v[11:12], v[8:9] offset0:9 offset1:12
	s_waitcnt vmcnt(8)
	v_mul_f32_e32 v8, v20, v95
	v_mul_f32_e32 v9, v19, v95
	v_fmac_f32_e32 v8, v19, v94
	v_fma_f32 v9, v20, v94, -v9
	s_waitcnt vmcnt(6)
	v_mul_f32_e32 v10, v22, v97
	v_mul_f32_e32 v11, v21, v97
	v_fmac_f32_e32 v10, v21, v96
	v_fma_f32 v11, v22, v96, -v11
	ds_write2st64_b64 v144, v[8:9], v[10:11] offset0:15 offset1:18
	s_waitcnt vmcnt(3)
	v_mul_f32_e32 v8, v24, v107
	v_mul_f32_e32 v9, v23, v107
	s_waitcnt vmcnt(2)
	v_mul_f32_e32 v10, v26, v103
	v_mul_f32_e32 v11, v25, v103
	v_fmac_f32_e32 v8, v23, v106
	v_fma_f32 v9, v24, v106, -v9
	v_fmac_f32_e32 v10, v25, v102
	v_fma_f32 v11, v26, v102, -v11
	ds_write2st64_b64 v144, v[8:9], v[10:11] offset0:21 offset1:24
	s_waitcnt vmcnt(0)
	v_mul_f32_e32 v8, v28, v105
	v_mul_f32_e32 v9, v27, v105
	v_fmac_f32_e32 v8, v27, v104
	v_fma_f32 v9, v28, v104, -v9
	ds_write_b64 v144, v[8:9] offset:13824
	s_and_saveexec_b64 s[2:3], s[0:1]
	s_cbranch_execz .LBB0_3
; %bb.2:
	v_mov_b32_e32 v8, 0xffffcdc0
	v_mad_u64_u32 v[6:7], s[18:19], s12, v8, v[6:7]
	s_mulk_i32 s13, 0xcdc0
	s_sub_i32 s12, s13, s12
	v_add_u32_e32 v7, s12, v7
	global_load_dwordx2 v[8:9], v[6:7], off
	v_mov_b32_e32 v40, s17
	v_add_co_u32_e32 v6, vcc, s16, v6
	v_addc_co_u32_e32 v7, vcc, v7, v40, vcc
	global_load_dwordx2 v[10:11], v[6:7], off
	v_add_co_u32_e32 v6, vcc, s16, v6
	v_addc_co_u32_e32 v7, vcc, v7, v40, vcc
	global_load_dwordx2 v[12:13], v[6:7], off
	v_add_co_u32_e32 v6, vcc, s16, v6
	v_addc_co_u32_e32 v7, vcc, v7, v40, vcc
	global_load_dwordx2 v[14:15], v[88:89], off offset:960
	global_load_dwordx2 v[16:17], v[6:7], off
	global_load_dwordx2 v[18:19], v[88:89], off offset:2496
	global_load_dwordx2 v[20:21], v[88:89], off offset:4032
	;; [unrolled: 1-line block ×3, first 2 shown]
	v_add_co_u32_e32 v6, vcc, s16, v6
	v_addc_co_u32_e32 v7, vcc, v7, v40, vcc
	global_load_dwordx2 v[24:25], v[6:7], off
	v_add_co_u32_e32 v6, vcc, s16, v6
	v_addc_co_u32_e32 v7, vcc, v7, v40, vcc
	global_load_dwordx2 v[26:27], v[6:7], off
	global_load_dwordx2 v[28:29], v[0:1], off offset:3008
	global_load_dwordx2 v[30:31], v[2:3], off offset:448
	v_add_co_u32_e32 v0, vcc, s16, v6
	v_addc_co_u32_e32 v1, vcc, v7, v40, vcc
	global_load_dwordx2 v[6:7], v[0:1], off
	v_add_co_u32_e32 v0, vcc, s16, v0
	v_addc_co_u32_e32 v1, vcc, v1, v40, vcc
	global_load_dwordx2 v[32:33], v[2:3], off offset:1984
	global_load_dwordx2 v[34:35], v[0:1], off
	global_load_dwordx2 v[36:37], v[2:3], off offset:3520
	v_add_co_u32_e32 v0, vcc, s16, v0
	v_addc_co_u32_e32 v1, vcc, v1, v40, vcc
	global_load_dwordx2 v[2:3], v[0:1], off
	global_load_dwordx2 v[38:39], v[4:5], off offset:960
	v_add_co_u32_e32 v0, vcc, s16, v0
	v_addc_co_u32_e32 v1, vcc, v1, v40, vcc
	global_load_dwordx2 v[40:41], v[4:5], off offset:2496
	global_load_dwordx2 v[42:43], v[0:1], off
	v_add_u32_e32 v44, 0x1c0, v144
	s_waitcnt vmcnt(16)
	v_mul_f32_e32 v0, v9, v15
	v_mul_f32_e32 v1, v8, v15
	s_waitcnt vmcnt(14)
	v_mul_f32_e32 v4, v11, v19
	v_mul_f32_e32 v5, v10, v19
	v_fmac_f32_e32 v0, v8, v14
	v_fma_f32 v1, v9, v14, -v1
	v_fmac_f32_e32 v4, v10, v18
	v_fma_f32 v5, v11, v18, -v5
	s_waitcnt vmcnt(13)
	v_mul_f32_e32 v8, v13, v21
	v_mul_f32_e32 v9, v12, v21
	ds_write2st64_b64 v44, v[0:1], v[4:5] offset0:1 offset1:4
	s_waitcnt vmcnt(12)
	v_mul_f32_e32 v0, v17, v23
	v_mul_f32_e32 v1, v16, v23
	v_fmac_f32_e32 v8, v12, v20
	v_fma_f32 v9, v13, v20, -v9
	v_fmac_f32_e32 v0, v16, v22
	v_fma_f32 v1, v17, v22, -v1
	s_waitcnt vmcnt(9)
	v_mul_f32_e32 v4, v25, v29
	v_mul_f32_e32 v5, v24, v29
	ds_write2st64_b64 v44, v[8:9], v[0:1] offset0:7 offset1:10
	;; [unrolled: 11-line block ×3, first 2 shown]
	s_waitcnt vmcnt(4)
	v_mul_f32_e32 v0, v35, v37
	v_mul_f32_e32 v1, v34, v37
	v_fmac_f32_e32 v8, v6, v32
	v_fma_f32 v9, v7, v32, -v9
	v_fmac_f32_e32 v0, v34, v36
	v_fma_f32 v1, v35, v36, -v1
	ds_write2st64_b64 v44, v[8:9], v[0:1] offset0:19 offset1:22
	s_waitcnt vmcnt(2)
	v_mul_f32_e32 v0, v3, v39
	v_mul_f32_e32 v1, v2, v39
	v_fmac_f32_e32 v0, v2, v38
	v_fma_f32 v1, v3, v38, -v1
	s_waitcnt vmcnt(0)
	v_mul_f32_e32 v2, v43, v41
	v_mul_f32_e32 v3, v42, v41
	v_fmac_f32_e32 v2, v42, v40
	v_fma_f32 v3, v43, v40, -v3
	ds_write2st64_b64 v44, v[0:1], v[2:3] offset0:25 offset1:28
.LBB0_3:
	s_or_b64 exec, exec, s[2:3]
	s_waitcnt lgkmcnt(0)
	s_barrier
	ds_read2st64_b64 v[24:27], v144 offset0:3 offset1:6
	ds_read2st64_b64 v[20:23], v144 offset0:9 offset1:12
	;; [unrolled: 1-line block ×4, first 2 shown]
	ds_read_b64 v[36:37], v145
	ds_read_b64 v[38:39], v144 offset:13824
                                        ; implicit-def: $vgpr6
                                        ; implicit-def: $vgpr12
                                        ; implicit-def: $vgpr16
                                        ; implicit-def: $vgpr10
                                        ; implicit-def: $vgpr2
	s_and_saveexec_b64 s[2:3], s[0:1]
	s_cbranch_execz .LBB0_5
; %bb.4:
	v_add_u32_e32 v16, 0x1c0, v144
	ds_read2st64_b64 v[0:3], v16 offset0:1 offset1:4
	ds_read2st64_b64 v[8:11], v16 offset0:7 offset1:10
	;; [unrolled: 1-line block ×5, first 2 shown]
.LBB0_5:
	s_or_b64 exec, exec, s[2:3]
	s_waitcnt lgkmcnt(3)
	v_add_f32_e32 v41, v22, v30
	s_waitcnt lgkmcnt(1)
	v_fma_f32 v41, -0.5, v41, v36
	v_sub_f32_e32 v42, v27, v35
	v_mov_b32_e32 v43, v41
	v_fmac_f32_e32 v43, 0x3f737871, v42
	v_sub_f32_e32 v44, v23, v31
	v_sub_f32_e32 v45, v26, v22
	;; [unrolled: 1-line block ×3, first 2 shown]
	v_fmac_f32_e32 v41, 0xbf737871, v42
	v_fmac_f32_e32 v43, 0x3f167918, v44
	v_add_f32_e32 v45, v45, v46
	v_fmac_f32_e32 v41, 0xbf167918, v44
	v_fmac_f32_e32 v43, 0x3e9e377a, v45
	v_fmac_f32_e32 v41, 0x3e9e377a, v45
	v_add_f32_e32 v45, v26, v34
	v_add_f32_e32 v40, v36, v26
	v_fma_f32 v36, -0.5, v45, v36
	v_mov_b32_e32 v51, v36
	v_fmac_f32_e32 v51, 0xbf737871, v44
	v_fmac_f32_e32 v36, 0x3f737871, v44
	v_add_f32_e32 v44, v23, v31
	v_add_f32_e32 v40, v40, v22
	v_fma_f32 v60, -0.5, v44, v37
	v_add_f32_e32 v40, v40, v30
	v_sub_f32_e32 v45, v22, v26
	v_sub_f32_e32 v26, v26, v34
	v_mov_b32_e32 v53, v60
	v_add_f32_e32 v40, v40, v34
	v_sub_f32_e32 v46, v30, v34
	v_fmac_f32_e32 v53, 0xbf737871, v26
	v_sub_f32_e32 v22, v22, v30
	v_sub_f32_e32 v30, v27, v23
	;; [unrolled: 1-line block ×3, first 2 shown]
	v_fmac_f32_e32 v60, 0x3f737871, v26
	v_fmac_f32_e32 v53, 0xbf167918, v22
	v_add_f32_e32 v30, v30, v34
	v_fmac_f32_e32 v60, 0x3f167918, v22
	v_fmac_f32_e32 v53, 0x3e9e377a, v30
	;; [unrolled: 1-line block ×3, first 2 shown]
	v_add_f32_e32 v30, v27, v35
	v_fmac_f32_e32 v51, 0x3f167918, v42
	v_fmac_f32_e32 v36, 0xbf167918, v42
	v_add_f32_e32 v42, v37, v27
	v_fmac_f32_e32 v37, -0.5, v30
	v_mov_b32_e32 v30, v37
	v_add_f32_e32 v42, v42, v23
	v_fmac_f32_e32 v30, 0x3f737871, v22
	v_sub_f32_e32 v23, v23, v27
	v_sub_f32_e32 v27, v31, v35
	v_fmac_f32_e32 v37, 0xbf737871, v22
	v_fmac_f32_e32 v30, 0xbf167918, v26
	v_add_f32_e32 v23, v23, v27
	v_fmac_f32_e32 v37, 0x3f167918, v26
	v_fmac_f32_e32 v30, 0x3e9e377a, v23
	;; [unrolled: 1-line block ×3, first 2 shown]
	v_add_f32_e32 v23, v28, v32
	v_fma_f32 v23, -0.5, v23, v24
	v_add_f32_e32 v42, v42, v31
	s_waitcnt lgkmcnt(0)
	v_sub_f32_e32 v26, v21, v39
	v_mov_b32_e32 v27, v23
	v_add_f32_e32 v42, v42, v35
	v_fmac_f32_e32 v27, 0x3f737871, v26
	v_sub_f32_e32 v31, v29, v33
	v_sub_f32_e32 v34, v20, v28
	;; [unrolled: 1-line block ×3, first 2 shown]
	v_fmac_f32_e32 v23, 0xbf737871, v26
	v_fmac_f32_e32 v27, 0x3f167918, v31
	v_add_f32_e32 v34, v34, v35
	v_fmac_f32_e32 v23, 0xbf167918, v31
	v_fmac_f32_e32 v27, 0x3e9e377a, v34
	;; [unrolled: 1-line block ×3, first 2 shown]
	v_add_f32_e32 v34, v20, v38
	v_add_f32_e32 v45, v45, v46
	v_add_f32_e32 v22, v24, v20
	v_fma_f32 v24, -0.5, v34, v24
	v_fmac_f32_e32 v51, 0x3e9e377a, v45
	v_fmac_f32_e32 v36, 0x3e9e377a, v45
	v_mov_b32_e32 v45, v24
	v_fmac_f32_e32 v45, 0xbf737871, v31
	v_fmac_f32_e32 v24, 0x3f737871, v31
	v_add_f32_e32 v31, v29, v33
	v_sub_f32_e32 v34, v28, v20
	v_sub_f32_e32 v35, v32, v38
	v_fma_f32 v31, -0.5, v31, v25
	v_add_f32_e32 v22, v22, v28
	v_fmac_f32_e32 v45, 0x3f167918, v26
	v_add_f32_e32 v34, v34, v35
	v_fmac_f32_e32 v24, 0xbf167918, v26
	v_sub_f32_e32 v20, v20, v38
	v_mov_b32_e32 v35, v31
	v_add_f32_e32 v22, v22, v32
	v_fmac_f32_e32 v45, 0x3e9e377a, v34
	v_fmac_f32_e32 v24, 0x3e9e377a, v34
	;; [unrolled: 1-line block ×3, first 2 shown]
	v_sub_f32_e32 v28, v28, v32
	v_sub_f32_e32 v32, v21, v29
	;; [unrolled: 1-line block ×3, first 2 shown]
	v_fmac_f32_e32 v31, 0x3f737871, v20
	v_fmac_f32_e32 v35, 0xbf167918, v28
	v_add_f32_e32 v32, v32, v34
	v_fmac_f32_e32 v31, 0x3f167918, v28
	v_fmac_f32_e32 v35, 0x3e9e377a, v32
	;; [unrolled: 1-line block ×3, first 2 shown]
	v_add_f32_e32 v32, v21, v39
	v_add_f32_e32 v26, v25, v21
	v_fma_f32 v25, -0.5, v32, v25
	v_add_f32_e32 v22, v22, v38
	v_mov_b32_e32 v38, v25
	v_add_f32_e32 v26, v26, v29
	v_fmac_f32_e32 v38, 0x3f737871, v28
	v_sub_f32_e32 v21, v29, v21
	v_sub_f32_e32 v29, v33, v39
	v_fmac_f32_e32 v25, 0xbf737871, v28
	v_fmac_f32_e32 v38, 0xbf167918, v20
	v_add_f32_e32 v21, v21, v29
	v_fmac_f32_e32 v25, 0x3f167918, v20
	s_movk_i32 s2, 0x78
	s_mov_b32 s12, 0x3f737871
	v_fmac_f32_e32 v38, 0x3e9e377a, v21
	v_fmac_f32_e32 v25, 0x3e9e377a, v21
	v_mul_f32_e32 v28, 0x3e9e377a, v24
	v_add_co_u32_e32 v56, vcc, s2, v139
	s_mov_b32 s2, 0xbf737871
	v_mul_f32_e32 v21, 0x3f737871, v38
	v_fma_f32 v28, v25, s12, -v28
	v_mul_f32_e32 v25, 0x3e9e377a, v25
	s_mov_b32 s3, 0xbf167918
	v_fmac_f32_e32 v21, 0x3e9e377a, v45
	v_fma_f32 v24, v24, s2, -v25
	v_mul_f32_e32 v25, 0x3f4f1bbd, v31
	v_add_f32_e32 v44, v51, v21
	v_mul_f32_e32 v29, 0x3f4f1bbd, v23
	v_fma_f32 v23, v23, s3, -v25
	v_sub_f32_e32 v54, v51, v21
	v_add_f32_e32 v21, v12, v4
	v_add_f32_e32 v26, v26, v33
	;; [unrolled: 1-line block ×3, first 2 shown]
	v_sub_f32_e32 v60, v60, v23
	v_fma_f32 v23, -0.5, v21, v0
	v_add_f32_e32 v26, v26, v39
	v_add_f32_e32 v32, v40, v22
	v_sub_f32_e32 v50, v40, v22
	v_sub_f32_e32 v22, v9, v17
	v_mov_b32_e32 v21, v23
	v_add_f32_e32 v33, v42, v26
	v_add_f32_e32 v47, v37, v24
	v_sub_f32_e32 v51, v42, v26
	v_sub_f32_e32 v58, v37, v24
	v_fmac_f32_e32 v21, 0x3f737871, v22
	v_sub_f32_e32 v24, v5, v13
	v_sub_f32_e32 v25, v8, v4
	;; [unrolled: 1-line block ×3, first 2 shown]
	v_fmac_f32_e32 v23, 0xbf737871, v22
	v_mul_f32_e32 v20, 0x3f4f1bbd, v27
	v_fmac_f32_e32 v21, 0x3f167918, v24
	v_add_f32_e32 v25, v26, v25
	v_fmac_f32_e32 v23, 0xbf167918, v24
	v_fmac_f32_e32 v20, 0x3f167918, v35
	;; [unrolled: 1-line block ×4, first 2 shown]
	v_add_f32_e32 v25, v16, v8
	v_add_f32_e32 v34, v43, v20
	v_mul_f32_e32 v27, 0xbf167918, v27
	v_sub_f32_e32 v52, v43, v20
	v_add_f32_e32 v20, v8, v0
	v_fmac_f32_e32 v0, -0.5, v25
	v_fmac_f32_e32 v27, 0x3f4f1bbd, v35
	v_mov_b32_e32 v25, v0
	v_add_f32_e32 v35, v53, v27
	v_sub_f32_e32 v53, v53, v27
	v_add_f32_e32 v20, v4, v20
	v_fmac_f32_e32 v25, 0xbf737871, v24
	v_sub_f32_e32 v26, v4, v8
	v_sub_f32_e32 v27, v12, v16
	v_fmac_f32_e32 v0, 0x3f737871, v24
	v_add_f32_e32 v24, v13, v5
	v_add_f32_e32 v20, v12, v20
	;; [unrolled: 1-line block ×3, first 2 shown]
	v_fma_f32 v27, -0.5, v24, v1
	v_add_f32_e32 v20, v16, v20
	v_sub_f32_e32 v16, v8, v16
	v_mov_b32_e32 v8, v27
	v_fmac_f32_e32 v8, 0xbf737871, v16
	v_sub_f32_e32 v4, v4, v12
	v_sub_f32_e32 v12, v9, v5
	;; [unrolled: 1-line block ×3, first 2 shown]
	v_fmac_f32_e32 v27, 0x3f737871, v16
	v_fmac_f32_e32 v8, 0xbf167918, v4
	v_add_f32_e32 v12, v24, v12
	v_fmac_f32_e32 v27, 0x3f167918, v4
	v_fmac_f32_e32 v8, 0x3e9e377a, v12
	;; [unrolled: 1-line block ×3, first 2 shown]
	v_add_f32_e32 v12, v17, v9
	v_fmac_f32_e32 v25, 0x3f167918, v22
	v_fmac_f32_e32 v0, 0xbf167918, v22
	v_add_f32_e32 v22, v9, v1
	v_fmac_f32_e32 v1, -0.5, v12
	v_mov_b32_e32 v12, v1
	v_add_f32_e32 v22, v5, v22
	v_fmac_f32_e32 v12, 0x3f737871, v4
	v_sub_f32_e32 v5, v5, v9
	v_sub_f32_e32 v9, v13, v17
	v_fmac_f32_e32 v1, 0xbf737871, v4
	v_fmac_f32_e32 v12, 0xbf167918, v16
	v_add_f32_e32 v5, v9, v5
	v_fmac_f32_e32 v1, 0x3f167918, v16
	v_fmac_f32_e32 v12, 0x3e9e377a, v5
	;; [unrolled: 1-line block ×3, first 2 shown]
	v_add_f32_e32 v5, v6, v14
	v_fma_f32 v9, -0.5, v5, v2
	v_add_f32_e32 v22, v13, v22
	v_sub_f32_e32 v5, v11, v19
	v_mov_b32_e32 v13, v9
	v_add_f32_e32 v22, v17, v22
	v_fmac_f32_e32 v13, 0x3f737871, v5
	v_sub_f32_e32 v16, v7, v15
	v_sub_f32_e32 v17, v10, v6
	;; [unrolled: 1-line block ×3, first 2 shown]
	v_fmac_f32_e32 v9, 0xbf737871, v5
	v_fmac_f32_e32 v13, 0x3f167918, v16
	v_add_f32_e32 v17, v24, v17
	v_fmac_f32_e32 v9, 0xbf167918, v16
	v_fmac_f32_e32 v13, 0x3e9e377a, v17
	;; [unrolled: 1-line block ×3, first 2 shown]
	v_add_f32_e32 v17, v18, v10
	v_add_f32_e32 v4, v10, v2
	v_fmac_f32_e32 v2, -0.5, v17
	v_mov_b32_e32 v17, v2
	v_add_f32_e32 v4, v6, v4
	v_fmac_f32_e32 v17, 0xbf737871, v16
	v_fmac_f32_e32 v2, 0x3f737871, v16
	v_add_f32_e32 v16, v7, v15
	v_fmac_f32_e32 v25, 0x3e9e377a, v26
	v_fmac_f32_e32 v0, 0x3e9e377a, v26
	v_add_f32_e32 v4, v14, v4
	v_sub_f32_e32 v24, v6, v10
	v_sub_f32_e32 v26, v14, v18
	v_fma_f32 v16, -0.5, v16, v3
	v_add_f32_e32 v4, v18, v4
	v_fmac_f32_e32 v17, 0x3f167918, v5
	v_add_f32_e32 v24, v26, v24
	v_fmac_f32_e32 v2, 0xbf167918, v5
	v_sub_f32_e32 v10, v10, v18
	v_mov_b32_e32 v18, v16
	v_fmac_f32_e32 v17, 0x3e9e377a, v24
	v_fmac_f32_e32 v2, 0x3e9e377a, v24
	;; [unrolled: 1-line block ×3, first 2 shown]
	v_sub_f32_e32 v6, v6, v14
	v_sub_f32_e32 v14, v11, v7
	;; [unrolled: 1-line block ×3, first 2 shown]
	v_fmac_f32_e32 v16, 0x3f737871, v10
	v_fmac_f32_e32 v18, 0xbf167918, v6
	v_add_f32_e32 v14, v24, v14
	v_fmac_f32_e32 v16, 0x3f167918, v6
	v_fmac_f32_e32 v18, 0x3e9e377a, v14
	v_fmac_f32_e32 v16, 0x3e9e377a, v14
	v_add_f32_e32 v14, v19, v11
	v_add_f32_e32 v5, v11, v3
	v_fmac_f32_e32 v3, -0.5, v14
	v_mov_b32_e32 v14, v3
	v_add_f32_e32 v5, v7, v5
	v_fmac_f32_e32 v14, 0x3f737871, v6
	v_sub_f32_e32 v7, v7, v11
	v_sub_f32_e32 v11, v15, v19
	v_fmac_f32_e32 v3, 0xbf737871, v6
	v_fmac_f32_e32 v14, 0xbf167918, v10
	v_add_f32_e32 v7, v11, v7
	v_fmac_f32_e32 v3, 0x3f167918, v10
	s_load_dwordx2 s[4:5], s[4:5], 0x8
	v_fmac_f32_e32 v14, 0x3e9e377a, v7
	v_fmac_f32_e32 v3, 0x3e9e377a, v7
	v_mul_f32_e32 v7, 0x3e9e377a, v2
	s_mov_b32 s13, 0x3f167918
	v_mul_f32_e32 v39, 0xbf737871, v45
	v_mul_f32_e32 v6, 0x3f167918, v18
	v_fma_f32 v11, v3, s12, -v7
	v_mul_f32_e32 v7, 0x3f4f1bbd, v9
	v_mul_f32_e32 v3, 0x3e9e377a, v3
	v_fmac_f32_e32 v39, 0x3e9e377a, v38
	v_add_f32_e32 v5, v15, v5
	v_fmac_f32_e32 v6, 0x3f4f1bbd, v13
	v_mul_f32_e32 v10, 0x3f737871, v14
	v_fma_f32 v15, v16, s13, -v7
	v_mul_f32_e32 v7, 0xbf167918, v13
	v_mul_f32_e32 v13, 0xbf737871, v17
	v_fma_f32 v2, v2, s2, -v3
	v_mul_f32_e32 v3, 0x3f4f1bbd, v16
	v_fma_f32 v29, v31, s13, -v29
	v_add_f32_e32 v45, v30, v39
	v_sub_f32_e32 v55, v30, v39
	v_add_f32_e32 v5, v19, v5
	v_fmac_f32_e32 v10, 0x3e9e377a, v17
	v_add_f32_e32 v30, v0, v11
	v_fmac_f32_e32 v7, 0x3f4f1bbd, v18
	v_fmac_f32_e32 v13, 0x3e9e377a, v14
	v_fma_f32 v3, v9, s3, -v3
	v_sub_f32_e32 v24, v0, v11
	v_mul_lo_u16_e32 v0, 10, v139
	v_add_f32_e32 v46, v36, v28
	v_add_f32_e32 v48, v41, v29
	v_sub_f32_e32 v57, v36, v28
	v_sub_f32_e32 v59, v41, v29
	v_add_f32_e32 v28, v25, v10
	v_add_f32_e32 v40, v23, v15
	;; [unrolled: 1-line block ×5, first 2 shown]
	v_sub_f32_e32 v42, v20, v4
	v_sub_f32_e32 v36, v21, v6
	;; [unrolled: 1-line block ×9, first 2 shown]
	v_add_lshl_u32 v147, v146, v0, 3
	v_mul_u32_u24_e32 v148, 10, v56
	s_waitcnt lgkmcnt(0)
	s_barrier
	ds_write_b128 v147, v[32:35]
	ds_write_b128 v147, v[44:47] offset:16
	ds_write_b128 v147, v[48:51] offset:32
	;; [unrolled: 1-line block ×4, first 2 shown]
	s_and_saveexec_b64 s[2:3], s[0:1]
	s_cbranch_execz .LBB0_7
; %bb.6:
	v_add_f32_e32 v3, v8, v7
	v_add_f32_e32 v1, v5, v22
	;; [unrolled: 1-line block ×4, first 2 shown]
	v_add_lshl_u32 v4, v146, v148, 3
	ds_write_b128 v4, v[0:3]
	ds_write_b128 v4, v[28:31] offset:16
	ds_write_b128 v4, v[40:43] offset:32
	;; [unrolled: 1-line block ×4, first 2 shown]
.LBB0_7:
	s_or_b64 exec, exec, s[2:3]
	v_add_u32_e32 v0, 0x300, v144
	v_add_u32_e32 v8, 0x2100, v144
	s_waitcnt lgkmcnt(0)
	s_barrier
	ds_read2_b64 v[32:35], v0 offset0:24 offset1:224
	v_add_u32_e32 v0, 0xd00, v144
	v_add_u32_e32 v4, 0x1700, v144
	ds_read2_b64 v[44:47], v8 offset0:24 offset1:224
	v_add_u32_e32 v8, 0x2b00, v144
	ds_read2_b64 v[0:3], v0 offset0:24 offset1:224
	ds_read2_b64 v[4:7], v4 offset0:24 offset1:224
	;; [unrolled: 1-line block ×3, first 2 shown]
	ds_read_b64 v[52:53], v145
	ds_read_b64 v[54:55], v144 offset:13760
	s_movk_i32 s2, 0x50
	v_cmp_gt_u16_e64 s[2:3], s2, v139
	s_and_saveexec_b64 s[12:13], s[2:3]
	s_cbranch_execz .LBB0_9
; %bb.8:
	v_add_u32_e32 v8, 0x180, v144
	ds_read2st64_b64 v[28:31], v8 offset0:3 offset1:8
	ds_read2st64_b64 v[40:43], v8 offset0:13 offset1:18
	;; [unrolled: 1-line block ×3, first 2 shown]
.LBB0_9:
	s_or_b64 exec, exec, s[12:13]
	s_movk_i32 s16, 0xcd
	v_mul_lo_u16_sdwa v8, v139, s16 dst_sel:DWORD dst_unused:UNUSED_PAD src0_sel:BYTE_0 src1_sel:DWORD
	v_lshrrev_b16_e32 v79, 11, v8
	v_mul_lo_u16_e32 v8, 10, v79
	v_sub_u16_e32 v8, v139, v8
	v_and_b32_e32 v80, 0xff, v8
	v_mad_u64_u32 v[12:13], s[12:13], v80, 40, s[4:5]
	v_mul_u32_u24_e32 v79, 60, v79
	v_add_u32_e32 v79, v79, v80
	global_load_dwordx2 v[113:114], v[12:13], off offset:32
	global_load_dwordx4 v[8:11], v[12:13], off offset:16
	global_load_dwordx4 v[16:19], v[12:13], off
	v_add_lshl_u32 v151, v146, v79, 3
	s_waitcnt vmcnt(1) lgkmcnt(3)
	v_mul_f32_e32 v62, v6, v9
	s_waitcnt vmcnt(0)
	v_mul_f32_e32 v12, v35, v17
	v_fma_f32 v57, v34, v16, -v12
	v_mul_f32_e32 v12, v3, v19
	v_fma_f32 v59, v2, v18, -v12
	v_mul_f32_e32 v60, v2, v19
	v_mul_f32_e32 v2, v7, v9
	v_fma_f32 v61, v6, v8, -v2
	v_mul_f32_e32 v2, v47, v11
	v_fma_f32 v63, v46, v10, -v2
	v_mul_f32_e32 v46, v46, v11
	s_waitcnt lgkmcnt(2)
	v_mul_f32_e32 v2, v51, v114
	v_fmac_f32_e32 v46, v47, v10
	v_fma_f32 v47, v50, v113, -v2
	v_mul_lo_u16_sdwa v2, v56, s16 dst_sel:DWORD dst_unused:UNUSED_PAD src0_sel:BYTE_0 src1_sel:DWORD
	v_lshrrev_b16_e32 v81, 11, v2
	v_mul_lo_u16_e32 v2, 10, v81
	v_sub_u16_e32 v2, v56, v2
	v_and_b32_e32 v82, 0xff, v2
	v_fmac_f32_e32 v60, v3, v18
	v_mad_u64_u32 v[2:3], s[12:13], v82, 40, s[4:5]
	global_load_dwordx2 v[115:116], v[2:3], off offset:32
	global_load_dwordx4 v[12:15], v[2:3], off offset:16
	global_load_dwordx4 v[20:23], v[2:3], off
	v_mul_f32_e32 v58, v34, v17
	v_fmac_f32_e32 v58, v35, v16
	v_fmac_f32_e32 v62, v7, v8
	v_mul_f32_e32 v50, v50, v114
	v_fmac_f32_e32 v50, v51, v113
	s_waitcnt vmcnt(2) lgkmcnt(0)
	v_mul_f32_e32 v70, v54, v116
	s_waitcnt vmcnt(1)
	v_mul_f32_e32 v67, v48, v15
	s_waitcnt vmcnt(0)
	v_mul_f32_e32 v2, v1, v21
	v_fma_f32 v56, v0, v20, -v2
	v_mul_f32_e32 v69, v0, v21
	v_mul_f32_e32 v0, v5, v23
	v_fma_f32 v64, v4, v22, -v0
	v_mul_f32_e32 v0, v45, v13
	v_fma_f32 v66, v44, v12, -v0
	v_mul_f32_e32 v44, v44, v13
	v_mul_f32_e32 v0, v49, v15
	v_fmac_f32_e32 v44, v45, v12
	v_fma_f32 v45, v48, v14, -v0
	v_mul_f32_e32 v0, v55, v116
	v_fma_f32 v68, v54, v115, -v0
	v_add_u16_e32 v0, 0xf0, v139
	v_fmac_f32_e32 v69, v1, v20
	v_mul_u32_u24_e32 v1, 0xcccd, v0
	v_lshrrev_b32_e32 v83, 19, v1
	v_mul_lo_u16_e32 v1, 10, v83
	v_sub_u16_e32 v84, v0, v1
	v_mul_lo_u16_e32 v0, 40, v84
	v_add_co_u32_e32 v34, vcc, s4, v0
	v_mov_b32_e32 v0, s5
	v_mul_f32_e32 v65, v4, v23
	v_addc_co_u32_e32 v35, vcc, 0, v0, vcc
	v_fmac_f32_e32 v65, v5, v22
	global_load_dwordx2 v[111:112], v[34:35], off offset:32
	global_load_dwordx4 v[4:7], v[34:35], off offset:16
	global_load_dwordx4 v[0:3], v[34:35], off
	v_sub_f32_e32 v48, v60, v46
	v_fmac_f32_e32 v70, v55, v115
	v_fmac_f32_e32 v67, v49, v14
	s_waitcnt vmcnt(0)
	s_barrier
	v_mad_legacy_u16 v149, v83, 60, v84
	v_mul_f32_e32 v35, v43, v5
	v_mul_f32_e32 v34, v31, v1
	v_fma_f32 v34, v30, v0, -v34
	v_mul_f32_e32 v30, v30, v1
	v_fmac_f32_e32 v30, v31, v0
	v_mul_f32_e32 v31, v41, v3
	v_fma_f32 v31, v40, v2, -v31
	v_mul_f32_e32 v40, v40, v3
	v_fmac_f32_e32 v40, v41, v2
	v_fma_f32 v35, v42, v4, -v35
	v_mul_f32_e32 v41, v42, v5
	v_mul_f32_e32 v42, v37, v7
	v_fma_f32 v42, v36, v6, -v42
	v_mul_f32_e32 v36, v36, v7
	v_fmac_f32_e32 v41, v43, v4
	v_fmac_f32_e32 v36, v37, v6
	v_mul_f32_e32 v37, v39, v112
	v_add_f32_e32 v43, v59, v63
	v_fma_f32 v37, v38, v111, -v37
	v_mul_f32_e32 v38, v38, v112
	v_fma_f32 v43, -0.5, v43, v52
	v_fmac_f32_e32 v38, v39, v111
	v_add_f32_e32 v39, v52, v59
	v_mov_b32_e32 v52, v43
	v_fmac_f32_e32 v52, 0x3f5db3d7, v48
	v_fmac_f32_e32 v43, 0xbf5db3d7, v48
	v_add_f32_e32 v48, v53, v60
	v_add_f32_e32 v71, v48, v46
	;; [unrolled: 1-line block ×3, first 2 shown]
	v_fmac_f32_e32 v53, -0.5, v46
	v_sub_f32_e32 v46, v59, v63
	v_mov_b32_e32 v59, v53
	v_add_f32_e32 v48, v61, v47
	v_fmac_f32_e32 v59, 0xbf5db3d7, v46
	v_fmac_f32_e32 v53, 0x3f5db3d7, v46
	v_add_f32_e32 v46, v57, v61
	v_fmac_f32_e32 v57, -0.5, v48
	v_sub_f32_e32 v48, v62, v50
	v_mov_b32_e32 v51, v57
	v_fmac_f32_e32 v51, 0x3f5db3d7, v48
	v_fmac_f32_e32 v57, 0xbf5db3d7, v48
	v_add_f32_e32 v48, v58, v62
	v_add_f32_e32 v39, v39, v63
	;; [unrolled: 1-line block ×4, first 2 shown]
	v_fmac_f32_e32 v58, -0.5, v48
	v_add_f32_e32 v46, v46, v47
	v_sub_f32_e32 v47, v61, v47
	v_mov_b32_e32 v55, v58
	v_fmac_f32_e32 v55, 0xbf5db3d7, v47
	v_fmac_f32_e32 v58, 0x3f5db3d7, v47
	v_mul_f32_e32 v47, 0x3f5db3d7, v55
	v_mul_f32_e32 v61, -0.5, v57
	v_fmac_f32_e32 v47, 0.5, v51
	v_fmac_f32_e32 v61, 0x3f5db3d7, v58
	v_add_f32_e32 v50, v52, v47
	v_add_f32_e32 v54, v43, v61
	v_sub_f32_e32 v62, v52, v47
	v_sub_f32_e32 v52, v43, v61
	v_add_f32_e32 v43, v64, v45
	v_add_f32_e32 v48, v39, v46
	v_sub_f32_e32 v60, v39, v46
	v_add_f32_e32 v39, v32, v64
	v_fma_f32 v32, -0.5, v43, v32
	v_sub_f32_e32 v43, v65, v67
	v_mov_b32_e32 v46, v32
	v_add_f32_e32 v47, v65, v67
	v_mul_f32_e32 v58, -0.5, v58
	v_fmac_f32_e32 v46, 0x3f5db3d7, v43
	v_fmac_f32_e32 v32, 0xbf5db3d7, v43
	v_add_f32_e32 v43, v33, v65
	v_fmac_f32_e32 v33, -0.5, v47
	v_fmac_f32_e32 v58, 0xbf5db3d7, v57
	v_add_f32_e32 v39, v39, v45
	v_sub_f32_e32 v45, v64, v45
	v_mov_b32_e32 v47, v33
	v_add_f32_e32 v57, v66, v68
	v_mul_f32_e32 v72, 0xbf5db3d7, v51
	v_fmac_f32_e32 v47, 0xbf5db3d7, v45
	v_fmac_f32_e32 v33, 0x3f5db3d7, v45
	v_add_f32_e32 v45, v56, v66
	v_fmac_f32_e32 v56, -0.5, v57
	v_fmac_f32_e32 v72, 0.5, v55
	v_add_f32_e32 v55, v53, v58
	v_sub_f32_e32 v53, v53, v58
	v_sub_f32_e32 v57, v44, v70
	v_mov_b32_e32 v58, v56
	v_fmac_f32_e32 v58, 0x3f5db3d7, v57
	v_fmac_f32_e32 v56, 0xbf5db3d7, v57
	v_add_f32_e32 v57, v69, v44
	v_add_f32_e32 v44, v44, v70
	v_fmac_f32_e32 v69, -0.5, v44
	v_add_f32_e32 v49, v71, v63
	v_add_f32_e32 v51, v59, v72
	v_sub_f32_e32 v61, v71, v63
	v_sub_f32_e32 v63, v59, v72
	;; [unrolled: 1-line block ×3, first 2 shown]
	v_mov_b32_e32 v59, v69
	v_fmac_f32_e32 v59, 0xbf5db3d7, v44
	v_fmac_f32_e32 v69, 0x3f5db3d7, v44
	v_mul_f32_e32 v44, 0x3f5db3d7, v59
	v_mul_f32_e32 v71, -0.5, v56
	v_fmac_f32_e32 v44, 0.5, v58
	v_fmac_f32_e32 v71, 0x3f5db3d7, v69
	v_mul_f32_e32 v58, 0xbf5db3d7, v58
	v_add_f32_e32 v45, v45, v68
	v_add_f32_e32 v68, v32, v71
	v_fmac_f32_e32 v58, 0.5, v59
	v_mul_f32_e32 v59, -0.5, v69
	v_sub_f32_e32 v74, v32, v71
	v_add_f32_e32 v32, v31, v42
	v_fmac_f32_e32 v59, 0xbf5db3d7, v56
	v_fma_f32 v32, -0.5, v32, v28
	v_add_f32_e32 v57, v57, v70
	v_add_f32_e32 v64, v39, v45
	v_add_f32_e32 v69, v33, v59
	v_sub_f32_e32 v70, v39, v45
	v_sub_f32_e32 v75, v33, v59
	;; [unrolled: 1-line block ×3, first 2 shown]
	v_mov_b32_e32 v33, v32
	v_fmac_f32_e32 v33, 0x3f5db3d7, v39
	v_fmac_f32_e32 v32, 0xbf5db3d7, v39
	v_add_f32_e32 v39, v40, v36
	v_add_f32_e32 v43, v43, v67
	v_fma_f32 v39, -0.5, v39, v29
	v_add_f32_e32 v66, v46, v44
	v_add_f32_e32 v65, v43, v57
	v_sub_f32_e32 v72, v46, v44
	v_sub_f32_e32 v71, v43, v57
	;; [unrolled: 1-line block ×3, first 2 shown]
	v_mov_b32_e32 v43, v39
	v_fmac_f32_e32 v43, 0xbf5db3d7, v44
	v_fmac_f32_e32 v39, 0x3f5db3d7, v44
	v_add_f32_e32 v44, v35, v37
	v_fma_f32 v56, -0.5, v44, v34
	v_sub_f32_e32 v44, v41, v38
	v_mov_b32_e32 v46, v56
	v_fmac_f32_e32 v46, 0x3f5db3d7, v44
	v_fmac_f32_e32 v56, 0xbf5db3d7, v44
	v_add_f32_e32 v44, v41, v38
	v_add_f32_e32 v67, v47, v58
	v_sub_f32_e32 v73, v47, v58
	v_fma_f32 v47, -0.5, v44, v30
	v_sub_f32_e32 v44, v35, v37
	v_mov_b32_e32 v57, v47
	v_fmac_f32_e32 v57, 0xbf5db3d7, v44
	v_fmac_f32_e32 v47, 0x3f5db3d7, v44
	v_mul_f32_e32 v44, 0x3f5db3d7, v57
	v_mul_f32_e32 v45, -0.5, v56
	v_fmac_f32_e32 v44, 0.5, v46
	v_fmac_f32_e32 v45, 0x3f5db3d7, v47
	v_mul_f32_e32 v46, 0xbf5db3d7, v46
	v_mul_f32_e32 v47, -0.5, v47
	ds_write2_b64 v151, v[48:49], v[50:51] offset1:10
	ds_write2_b64 v151, v[54:55], v[60:61] offset0:20 offset1:30
	ds_write2_b64 v151, v[62:63], v[52:53] offset0:40 offset1:50
	v_mul_u32_u24_e32 v48, 60, v81
	v_fmac_f32_e32 v46, 0.5, v57
	v_fmac_f32_e32 v47, 0xbf5db3d7, v56
	v_add_u32_e32 v48, v48, v82
	v_sub_f32_e32 v56, v33, v44
	v_sub_f32_e32 v58, v32, v45
	;; [unrolled: 1-line block ×4, first 2 shown]
	v_add_lshl_u32 v152, v146, v48, 3
	ds_write2_b64 v152, v[64:65], v[66:67] offset1:10
	ds_write2_b64 v152, v[68:69], v[70:71] offset0:20 offset1:30
	ds_write2_b64 v152, v[72:73], v[74:75] offset0:40 offset1:50
	s_and_saveexec_b64 s[12:13], s[2:3]
	s_cbranch_execz .LBB0_11
; %bb.10:
	v_add_f32_e32 v29, v29, v40
	v_add_f32_e32 v36, v29, v36
	;; [unrolled: 1-line block ×8, first 2 shown]
	v_sub_f32_e32 v29, v36, v30
	v_sub_f32_e32 v28, v38, v35
	v_add_f32_e32 v34, v43, v46
	v_add_f32_e32 v36, v36, v30
	;; [unrolled: 1-line block ×5, first 2 shown]
	v_add_lshl_u32 v32, v146, v149, 3
	v_add_f32_e32 v31, v39, v47
	ds_write2_b64 v32, v[35:36], v[33:34] offset1:10
	ds_write2_b64 v32, v[30:31], v[28:29] offset0:20 offset1:30
	ds_write2_b64 v32, v[56:57], v[58:59] offset0:40 offset1:50
.LBB0_11:
	s_or_b64 exec, exec, s[12:13]
	v_subrev_u32_e32 v28, 60, v139
	v_cmp_gt_u16_e32 vcc, 60, v139
	v_cndmask_b32_e32 v75, v28, v139, vcc
	v_mul_i32_i24_e32 v29, 0x78, v75
	v_mul_hi_i32_i24_e32 v28, 0x78, v75
	v_mov_b32_e32 v87, s5
	v_add_co_u32_e32 v60, vcc, s4, v29
	v_addc_co_u32_e32 v61, vcc, v87, v28, vcc
	s_waitcnt lgkmcnt(0)
	s_barrier
	global_load_dwordx4 v[48:51], v[60:61], off offset:400
	global_load_dwordx4 v[40:43], v[60:61], off offset:416
	;; [unrolled: 1-line block ×7, first 2 shown]
	global_load_dwordx2 v[117:118], v[60:61], off offset:512
	ds_read2_b64 v[60:63], v144 offset0:120 offset1:240
	v_add_u32_e32 v74, 0x800, v144
	v_add_u32_e32 v73, 0x1000, v144
	;; [unrolled: 1-line block ×6, first 2 shown]
	ds_read_b64 v[127:128], v145
	ds_read_b64 v[129:130], v144 offset:14400
	ds_read2_b64 v[64:67], v74 offset0:104 offset1:224
	ds_read2_b64 v[68:71], v73 offset0:88 offset1:208
	;; [unrolled: 1-line block ×6, first 2 shown]
	v_cmp_lt_u16_e32 vcc, 59, v139
	s_waitcnt vmcnt(0) lgkmcnt(0)
	s_barrier
	s_movk_i32 s13, 0x1000
	s_movk_i32 s12, 0x2000
	;; [unrolled: 1-line block ×3, first 2 shown]
	v_mul_f32_e32 v132, v60, v49
	v_mul_f32_e32 v150, v66, v43
	v_mul_f32_e32 v133, v63, v51
	v_mul_f32_e32 v159, v79, v29
	v_mul_f32_e32 v160, v82, v31
	v_mul_f32_e32 v161, v81, v31
	v_mul_f32_e32 v163, v83, v53
	v_mul_f32_e32 v170, v121, v47
	v_mul_f32_e32 v134, v62, v51
	v_mul_f32_e32 v137, v64, v41
	v_mul_f32_e32 v138, v67, v43
	v_mul_f32_e32 v155, v68, v33
	v_mul_f32_e32 v157, v70, v35
	v_mul_f32_e32 v158, v80, v29
	v_mul_f32_e32 v162, v84, v53
	v_mul_f32_e32 v164, v86, v55
	v_mul_f32_e32 v168, v119, v45
	v_mul_f32_e32 v169, v122, v47
	v_fmac_f32_e32 v150, v67, v42
	v_fmac_f32_e32 v159, v80, v28
	v_fma_f32 v67, v81, v30, -v160
	v_fmac_f32_e32 v161, v82, v30
	v_fmac_f32_e32 v163, v84, v52
	;; [unrolled: 1-line block ×3, first 2 shown]
	v_mul_f32_e32 v80, v123, v37
	v_mul_f32_e32 v82, v125, v39
	;; [unrolled: 1-line block ×9, first 2 shown]
	v_fmac_f32_e32 v132, v61, v48
	v_fma_f32 v61, v62, v50, -v133
	v_fmac_f32_e32 v134, v63, v50
	v_fmac_f32_e32 v137, v65, v40
	v_fma_f32 v63, v66, v42, -v138
	v_fmac_f32_e32 v155, v69, v32
	;; [unrolled: 3-line block ×3, first 2 shown]
	v_fma_f32 v71, v121, v46, -v169
	v_fmac_f32_e32 v80, v124, v36
	v_mul_f32_e32 v81, v126, v39
	v_fmac_f32_e32 v82, v126, v38
	v_fmac_f32_e32 v84, v130, v117
	v_sub_f32_e32 v67, v127, v67
	v_sub_f32_e32 v85, v128, v161
	;; [unrolled: 1-line block ×3, first 2 shown]
	v_fma_f32 v62, v64, v40, -v136
	v_fma_f32 v64, v68, v32, -v154
	v_fma_f32 v65, v70, v34, -v156
	v_fma_f32 v66, v79, v28, -v158
	v_fma_f32 v68, v83, v52, -v162
	v_fmac_f32_e32 v165, v86, v54
	v_fma_f32 v70, v119, v44, -v166
	v_mul_f32_e32 v79, v124, v37
	v_fma_f32 v81, v125, v38, -v81
	v_mul_f32_e32 v83, v130, v118
	v_fma_f32 v119, v128, 2.0, -v85
	v_sub_f32_e32 v71, v63, v71
	v_fma_f32 v121, v150, 2.0, -v120
	v_sub_f32_e32 v69, v61, v69
	v_sub_f32_e32 v82, v157, v82
	v_sub_f32_e32 v125, v132, v163
	v_sub_f32_e32 v80, v155, v80
	v_sub_f32_e32 v128, v137, v168
	v_sub_f32_e32 v84, v159, v84
	v_sub_f32_e32 v120, v67, v120
	v_fma_f32 v79, v123, v36, -v79
	v_fma_f32 v83, v129, v117, -v83
	v_fma_f32 v86, v127, 2.0, -v67
	v_fma_f32 v63, v63, 2.0, -v71
	v_sub_f32_e32 v122, v134, v165
	v_sub_f32_e32 v81, v65, v81
	v_fma_f32 v124, v157, 2.0, -v82
	v_fma_f32 v126, v132, 2.0, -v125
	;; [unrolled: 1-line block ×5, first 2 shown]
	v_add_f32_e32 v71, v85, v71
	v_fma_f32 v67, v67, 2.0, -v120
	v_sub_f32_e32 v82, v69, v82
	v_fma_f32 v61, v61, 2.0, -v69
	v_fma_f32 v65, v65, 2.0, -v81
	v_sub_f32_e32 v79, v64, v79
	v_fma_f32 v85, v85, 2.0, -v71
	v_add_f32_e32 v81, v122, v81
	v_fma_f32 v69, v69, 2.0, -v82
	v_sub_f32_e32 v127, v126, v127
	v_sub_f32_e32 v130, v129, v130
	v_mov_b32_e32 v132, v67
	v_fma_f32 v60, v60, v48, -v131
	v_fma_f32 v123, v134, 2.0, -v122
	v_fma_f32 v64, v64, 2.0, -v79
	v_sub_f32_e32 v83, v66, v83
	v_sub_f32_e32 v63, v86, v63
	;; [unrolled: 1-line block ×3, first 2 shown]
	v_fma_f32 v122, v122, 2.0, -v81
	v_fma_f32 v126, v126, 2.0, -v127
	v_add_f32_e32 v79, v125, v79
	v_fma_f32 v129, v129, 2.0, -v130
	v_fmac_f32_e32 v132, 0xbf3504f3, v69
	v_mov_b32_e32 v133, v85
	v_sub_f32_e32 v68, v60, v68
	v_sub_f32_e32 v70, v62, v70
	v_fma_f32 v66, v66, 2.0, -v83
	v_fma_f32 v86, v86, 2.0, -v63
	;; [unrolled: 1-line block ×4, first 2 shown]
	v_add_f32_e32 v83, v128, v83
	v_fmac_f32_e32 v133, 0xbf3504f3, v122
	v_fmac_f32_e32 v132, 0xbf3504f3, v122
	v_sub_f32_e32 v122, v126, v129
	v_sub_f32_e32 v80, v68, v80
	;; [unrolled: 1-line block ×3, first 2 shown]
	v_fma_f32 v128, v128, 2.0, -v83
	v_sub_f32_e32 v131, v86, v61
	v_fma_f32 v61, v126, 2.0, -v122
	v_mov_b32_e32 v126, v125
	v_fma_f32 v60, v60, 2.0, -v68
	v_fma_f32 v62, v62, 2.0, -v70
	v_sub_f32_e32 v124, v123, v124
	v_fma_f32 v68, v68, 2.0, -v80
	v_fma_f32 v70, v70, 2.0, -v84
	v_fmac_f32_e32 v126, 0xbf3504f3, v128
	v_fma_f32 v123, v123, 2.0, -v124
	v_sub_f32_e32 v64, v60, v64
	v_fmac_f32_e32 v133, 0x3f3504f3, v69
	v_sub_f32_e32 v134, v63, v124
	v_mov_b32_e32 v137, v120
	v_mov_b32_e32 v138, v71
	;; [unrolled: 1-line block ×3, first 2 shown]
	v_fmac_f32_e32 v126, 0x3f3504f3, v70
	v_sub_f32_e32 v121, v119, v121
	v_fma_f32 v69, v85, 2.0, -v133
	v_fmac_f32_e32 v137, 0x3f3504f3, v82
	v_fmac_f32_e32 v138, 0x3f3504f3, v81
	;; [unrolled: 1-line block ×3, first 2 shown]
	v_fma_f32 v70, v125, 2.0, -v126
	v_sub_f32_e32 v125, v64, v130
	v_mov_b32_e32 v129, v80
	v_mov_b32_e32 v130, v79
	v_sub_f32_e32 v66, v62, v66
	v_fma_f32 v67, v67, 2.0, -v132
	v_add_f32_e32 v136, v121, v65
	v_fmac_f32_e32 v137, 0xbf3504f3, v81
	v_fmac_f32_e32 v138, 0x3f3504f3, v82
	;; [unrolled: 1-line block ×5, first 2 shown]
	v_mov_b32_e32 v65, v69
	v_fma_f32 v119, v119, 2.0, -v121
	v_fma_f32 v60, v60, 2.0, -v64
	v_fma_f32 v62, v62, 2.0, -v66
	v_fma_f32 v85, v63, 2.0, -v134
	v_fma_f32 v81, v120, 2.0, -v137
	v_fma_f32 v82, v71, 2.0, -v138
	v_fma_f32 v68, v68, 2.0, -v124
	v_fma_f32 v71, v64, 2.0, -v125
	v_fmac_f32_e32 v129, 0xbf3504f3, v83
	v_fmac_f32_e32 v130, 0x3f3504f3, v84
	v_mov_b32_e32 v64, v67
	v_fmac_f32_e32 v65, 0xbf6c835e, v70
	v_sub_f32_e32 v123, v119, v123
	v_sub_f32_e32 v120, v60, v62
	v_add_f32_e32 v128, v127, v66
	v_fma_f32 v83, v80, 2.0, -v129
	v_fma_f32 v84, v79, 2.0, -v130
	v_fmac_f32_e32 v64, 0xbf6c835e, v68
	v_fmac_f32_e32 v65, 0x3ec3ef15, v68
	v_mov_b32_e32 v68, v85
	v_mov_b32_e32 v79, v81
	;; [unrolled: 1-line block ×3, first 2 shown]
	v_fma_f32 v86, v86, 2.0, -v131
	v_fma_f32 v119, v119, 2.0, -v123
	;; [unrolled: 1-line block ×4, first 2 shown]
	v_fmac_f32_e32 v68, 0xbf3504f3, v71
	v_fmac_f32_e32 v79, 0xbec3ef15, v83
	;; [unrolled: 1-line block ×3, first 2 shown]
	v_sub_f32_e32 v60, v86, v60
	v_sub_f32_e32 v61, v119, v61
	v_fmac_f32_e32 v68, 0xbf3504f3, v127
	v_fmac_f32_e32 v79, 0xbf6c835e, v84
	;; [unrolled: 1-line block ×3, first 2 shown]
	v_sub_f32_e32 v83, v131, v122
	v_add_f32_e32 v84, v123, v120
	v_mov_b32_e32 v120, v133
	v_fma_f32 v121, v121, 2.0, -v136
	v_fma_f32 v62, v86, 2.0, -v60
	;; [unrolled: 1-line block ×3, first 2 shown]
	v_fmac_f32_e32 v64, 0xbec3ef15, v70
	v_fma_f32 v70, v85, 2.0, -v68
	v_fma_f32 v85, v131, 2.0, -v83
	;; [unrolled: 1-line block ×3, first 2 shown]
	v_mov_b32_e32 v119, v132
	v_fmac_f32_e32 v120, 0x3ec3ef15, v126
	v_mov_b32_e32 v123, v134
	v_mov_b32_e32 v131, 0x3c0
	v_fma_f32 v66, v67, 2.0, -v64
	v_fma_f32 v67, v69, 2.0, -v65
	v_mov_b32_e32 v69, v121
	v_fmac_f32_e32 v119, 0x3ec3ef15, v124
	v_fmac_f32_e32 v120, 0x3f6c835e, v124
	v_fmac_f32_e32 v123, 0x3f3504f3, v125
	v_mov_b32_e32 v124, v136
	v_cndmask_b32_e32 v131, 0, v131, vcc
	v_fmac_f32_e32 v69, 0xbf3504f3, v127
	v_fmac_f32_e32 v124, 0x3f3504f3, v128
	;; [unrolled: 1-line block ×3, first 2 shown]
	v_mov_b32_e32 v127, v137
	v_mov_b32_e32 v128, v138
	v_or_b32_e32 v75, v75, v131
	v_fmac_f32_e32 v69, 0x3f3504f3, v71
	v_fmac_f32_e32 v119, 0xbf6c835e, v126
	;; [unrolled: 1-line block ×4, first 2 shown]
	v_add_lshl_u32 v150, v146, v75, 3
	v_fma_f32 v71, v121, 2.0, -v69
	v_fma_f32 v81, v81, 2.0, -v79
	;; [unrolled: 1-line block ×5, first 2 shown]
	v_fmac_f32_e32 v124, 0x3f3504f3, v125
	v_fmac_f32_e32 v127, 0xbec3ef15, v130
	;; [unrolled: 1-line block ×3, first 2 shown]
	ds_write2_b64 v150, v[62:63], v[66:67] offset1:60
	ds_write2_b64 v150, v[70:71], v[81:82] offset0:120 offset1:180
	v_add_u32_e32 v62, 0x400, v150
	v_fma_f32 v125, v134, 2.0, -v123
	v_fma_f32 v126, v136, 2.0, -v124
	;; [unrolled: 1-line block ×4, first 2 shown]
	ds_write2_b64 v62, v[85:86], v[121:122] offset0:112 offset1:172
	v_add_u32_e32 v62, 0x800, v150
	ds_write2_b64 v62, v[125:126], v[129:130] offset0:104 offset1:164
	v_add_u32_e32 v62, 0xc00, v150
	;; [unrolled: 2-line block ×3, first 2 shown]
	v_lshlrev_b32_e32 v75, 3, v139
	ds_write2_b64 v60, v[68:69], v[79:80] offset0:88 offset1:148
	v_add_u32_e32 v60, 0x1400, v150
	v_add_co_u32_e32 v62, vcc, s4, v75
	ds_write2_b64 v60, v[83:84], v[119:120] offset0:80 offset1:140
	v_add_u32_e32 v60, 0x1800, v150
	v_addc_co_u32_e32 v63, vcc, 0, v87, vcc
	ds_write2_b64 v60, v[123:124], v[127:128] offset0:72 offset1:132
	v_add_co_u32_e32 v60, vcc, s13, v62
	v_addc_co_u32_e32 v61, vcc, 0, v63, vcc
	s_waitcnt lgkmcnt(0)
	s_barrier
	global_load_dwordx2 v[119:120], v[60:61], off offset:3504
	v_add_co_u32_e32 v60, vcc, s12, v62
	v_addc_co_u32_e32 v61, vcc, 0, v63, vcc
	global_load_dwordx2 v[121:122], v[60:61], off offset:368
	global_load_dwordx2 v[123:124], v[60:61], off offset:1328
	;; [unrolled: 1-line block ×4, first 2 shown]
	v_add_co_u32_e32 v60, vcc, s16, v62
	v_addc_co_u32_e32 v61, vcc, 0, v63, vcc
	global_load_dwordx2 v[129:130], v[60:61], off offset:112
	global_load_dwordx2 v[131:132], v[60:61], off offset:1072
	;; [unrolled: 1-line block ×3, first 2 shown]
	ds_read2_b64 v[79:82], v72 offset0:72 offset1:192
	ds_read2_b64 v[60:63], v144 offset0:120 offset1:240
	;; [unrolled: 1-line block ×7, first 2 shown]
	ds_read_b64 v[157:158], v145
	ds_read_b64 v[159:160], v144 offset:14400
	s_add_u32 s4, s14, 0x3c00
	s_addc_u32 s5, s15, 0
	s_waitcnt vmcnt(7) lgkmcnt(8)
	v_mul_f32_e32 v87, v82, v120
	v_fma_f32 v87, v81, v119, -v87
	v_mul_f32_e32 v161, v81, v120
	s_waitcnt vmcnt(6) lgkmcnt(6)
	v_mul_f32_e32 v81, v65, v122
	v_fma_f32 v162, v64, v121, -v81
	v_mul_f32_e32 v64, v64, v122
	s_waitcnt vmcnt(3) lgkmcnt(4)
	v_mul_f32_e32 v81, v86, v128
	v_fmac_f32_e32 v64, v65, v121
	v_mul_f32_e32 v65, v67, v124
	v_fma_f32 v164, v85, v127, -v81
	s_waitcnt vmcnt(2) lgkmcnt(2)
	v_mul_f32_e32 v81, v154, v130
	v_fma_f32 v65, v66, v123, -v65
	v_mul_f32_e32 v66, v66, v124
	v_fma_f32 v168, v153, v129, -v81
	s_waitcnt vmcnt(1)
	v_mul_f32_e32 v81, v156, v132
	v_fmac_f32_e32 v161, v82, v119
	v_fmac_f32_e32 v66, v67, v123
	v_mul_f32_e32 v67, v84, v126
	v_mul_f32_e32 v163, v83, v126
	v_mul_f32_e32 v165, v85, v128
	v_fma_f32 v170, v155, v131, -v81
	s_waitcnt vmcnt(0) lgkmcnt(0)
	v_mul_f32_e32 v81, v160, v134
	v_fma_f32 v67, v83, v125, -v67
	v_fmac_f32_e32 v163, v84, v125
	v_fmac_f32_e32 v165, v86, v127
	v_mul_f32_e32 v169, v153, v130
	v_mul_f32_e32 v171, v155, v132
	v_fma_f32 v172, v159, v133, -v81
	v_mul_f32_e32 v173, v159, v134
	v_sub_f32_e32 v81, v157, v87
	v_sub_f32_e32 v82, v158, v161
	v_fmac_f32_e32 v169, v154, v129
	v_fmac_f32_e32 v171, v156, v131
	;; [unrolled: 1-line block ×3, first 2 shown]
	v_fma_f32 v83, v157, 2.0, -v81
	v_fma_f32 v84, v158, 2.0, -v82
	v_sub_f32_e32 v85, v60, v162
	v_sub_f32_e32 v86, v61, v64
	;; [unrolled: 1-line block ×8, first 2 shown]
	v_fma_f32 v153, v60, 2.0, -v85
	v_fma_f32 v154, v61, 2.0, -v86
	;; [unrolled: 1-line block ×8, first 2 shown]
	v_sub_f32_e32 v64, v135, v168
	v_sub_f32_e32 v65, v136, v169
	v_sub_f32_e32 v68, v137, v170
	v_sub_f32_e32 v69, v138, v171
	ds_write_b64 v145, v[83:84]
	ds_write2_b64 v144, v[153:154], v[157:158] offset0:120 offset1:240
	ds_write2_b64 v167, v[85:86], v[155:156] offset0:56 offset1:176
	;; [unrolled: 1-line block ×3, first 2 shown]
	v_add_u32_e32 v74, 0x2900, v144
	v_fma_f32 v60, v135, 2.0, -v64
	v_fma_f32 v61, v136, 2.0, -v65
	;; [unrolled: 1-line block ×4, first 2 shown]
	v_sub_f32_e32 v62, v79, v172
	v_sub_f32_e32 v63, v80, v173
	ds_write2_b64 v74, v[159:160], v[64:65] offset0:8 offset1:248
	ds_write2_b64 v73, v[60:61], v[66:67] offset0:88 offset1:208
	v_add_u32_e32 v73, 0x2d00, v144
	v_fma_f32 v70, v79, 2.0, -v62
	v_fma_f32 v71, v80, 2.0, -v63
	ds_write2_b64 v73, v[163:164], v[68:69] offset1:240
	ds_write2_b64 v72, v[70:71], v[81:82] offset0:72 offset1:192
	ds_write_b64 v144, v[62:63] offset:14400
	s_waitcnt lgkmcnt(0)
	s_barrier
	global_load_dwordx2 v[79:80], v75, s[4:5]
	global_load_dwordx2 v[82:83], v75, s[4:5] offset:1536
	global_load_dwordx2 v[86:87], v75, s[4:5] offset:3072
	v_mov_b32_e32 v73, s5
	v_add_co_u32_e32 v72, vcc, s4, v75
	v_addc_co_u32_e32 v73, vcc, 0, v73, vcc
	v_add_co_u32_e32 v74, vcc, s13, v72
	v_addc_co_u32_e32 v75, vcc, 0, v73, vcc
	global_load_dwordx2 v[135:136], v[74:75], off offset:512
	global_load_dwordx2 v[137:138], v77, s[4:5]
	global_load_dwordx2 v[153:154], v[74:75], off offset:3584
	global_load_dwordx2 v[155:156], v76, s[4:5]
	v_add_co_u32_e32 v76, vcc, s12, v72
	v_addc_co_u32_e32 v77, vcc, 0, v73, vcc
	global_load_dwordx2 v[157:158], v[76:77], off offset:2560
	global_load_dwordx2 v[159:160], v78, s[4:5]
	v_add_co_u32_e32 v84, vcc, 0x3000, v72
	v_addc_co_u32_e32 v85, vcc, 0, v73, vcc
	global_load_dwordx2 v[161:162], v[84:85], off offset:1536
	ds_read_b64 v[84:85], v145
	s_waitcnt vmcnt(9) lgkmcnt(0)
	v_mul_f32_e32 v78, v85, v80
	v_mul_f32_e32 v164, v84, v80
	v_fma_f32 v163, v84, v79, -v78
	v_fmac_f32_e32 v164, v85, v79
	ds_write_b64 v145, v[163:164]
	ds_read2st64_b64 v[78:81], v144 offset0:3 offset1:6
	s_waitcnt vmcnt(8) lgkmcnt(0)
	v_mul_f32_e32 v84, v79, v83
	v_mul_f32_e32 v164, v78, v83
	v_fma_f32 v163, v78, v82, -v84
	v_fmac_f32_e32 v164, v79, v82
	ds_read2st64_b64 v[82:85], v144 offset0:9 offset1:12
	s_waitcnt vmcnt(7)
	v_mul_f32_e32 v78, v81, v87
	v_mul_f32_e32 v79, v80, v87
	v_fma_f32 v78, v80, v86, -v78
	v_fmac_f32_e32 v79, v81, v86
	ds_write2st64_b64 v144, v[163:164], v[78:79] offset0:3 offset1:6
	s_waitcnt vmcnt(6) lgkmcnt(1)
	v_mul_f32_e32 v78, v83, v136
	v_fma_f32 v86, v82, v135, -v78
	ds_read2st64_b64 v[78:81], v144 offset0:15 offset1:18
	v_mul_f32_e32 v87, v82, v136
	v_fmac_f32_e32 v87, v83, v135
	s_waitcnt vmcnt(5)
	v_mul_f32_e32 v82, v85, v138
	v_mul_f32_e32 v83, v84, v138
	v_fma_f32 v82, v84, v137, -v82
	v_fmac_f32_e32 v83, v85, v137
	ds_write2st64_b64 v144, v[86:87], v[82:83] offset0:9 offset1:12
	s_waitcnt vmcnt(4) lgkmcnt(1)
	v_mul_f32_e32 v82, v79, v154
	v_fma_f32 v86, v78, v153, -v82
	ds_read2st64_b64 v[82:85], v144 offset0:21 offset1:24
	v_mul_f32_e32 v87, v78, v154
	v_fmac_f32_e32 v87, v79, v153
	s_waitcnt vmcnt(3)
	v_mul_f32_e32 v78, v81, v156
	v_mul_f32_e32 v79, v80, v156
	v_fma_f32 v78, v80, v155, -v78
	v_fmac_f32_e32 v79, v81, v155
	ds_read_b64 v[80:81], v144 offset:13824
	ds_write2st64_b64 v144, v[86:87], v[78:79] offset0:15 offset1:18
	s_waitcnt vmcnt(2) lgkmcnt(2)
	v_mul_f32_e32 v78, v83, v158
	v_mul_f32_e32 v79, v82, v158
	v_fma_f32 v78, v82, v157, -v78
	v_fmac_f32_e32 v79, v83, v157
	s_waitcnt vmcnt(1)
	v_mul_f32_e32 v82, v85, v160
	v_mul_f32_e32 v83, v84, v160
	v_fma_f32 v82, v84, v159, -v82
	v_fmac_f32_e32 v83, v85, v159
	ds_write2st64_b64 v144, v[78:79], v[82:83] offset0:21 offset1:24
	s_waitcnt vmcnt(0) lgkmcnt(2)
	v_mul_f32_e32 v78, v81, v162
	v_mul_f32_e32 v79, v80, v162
	v_fma_f32 v78, v80, v161, -v78
	v_fmac_f32_e32 v79, v81, v161
	ds_write_b64 v144, v[78:79] offset:13824
	s_and_saveexec_b64 s[4:5], s[0:1]
	s_cbranch_execz .LBB0_13
; %bb.12:
	global_load_dwordx2 v[153:154], v[72:73], off offset:960
	global_load_dwordx2 v[155:156], v[72:73], off offset:2496
	;; [unrolled: 1-line block ×8, first 2 shown]
	v_add_co_u32_e32 v72, vcc, s16, v72
	v_addc_co_u32_e32 v73, vcc, 0, v73, vcc
	global_load_dwordx2 v[169:170], v[72:73], off offset:960
	global_load_dwordx2 v[171:172], v[72:73], off offset:2496
	v_add_u32_e32 v175, 0x1c0, v144
	ds_read2st64_b64 v[72:75], v175 offset0:1 offset1:4
	ds_read2st64_b64 v[76:79], v175 offset0:7 offset1:10
	;; [unrolled: 1-line block ×5, first 2 shown]
	s_waitcnt vmcnt(9) lgkmcnt(4)
	v_mul_f32_e32 v173, v73, v154
	v_mul_f32_e32 v174, v72, v154
	s_waitcnt vmcnt(8)
	v_mul_f32_e32 v176, v75, v156
	v_mul_f32_e32 v154, v74, v156
	v_fma_f32 v173, v72, v153, -v173
	v_fmac_f32_e32 v174, v73, v153
	v_fma_f32 v153, v74, v155, -v176
	v_fmac_f32_e32 v154, v75, v155
	s_waitcnt vmcnt(7) lgkmcnt(3)
	v_mul_f32_e32 v177, v77, v158
	v_mul_f32_e32 v156, v76, v158
	s_waitcnt vmcnt(6)
	v_mul_f32_e32 v178, v79, v160
	s_waitcnt vmcnt(1) lgkmcnt(0)
	v_mul_f32_e32 v72, v136, v170
	v_mul_f32_e32 v73, v135, v170
	s_waitcnt vmcnt(0)
	v_mul_f32_e32 v74, v138, v172
	v_mul_f32_e32 v75, v137, v172
	;; [unrolled: 1-line block ×11, first 2 shown]
	v_fma_f32 v72, v135, v169, -v72
	v_fmac_f32_e32 v73, v136, v169
	v_fma_f32 v74, v137, v171, -v74
	v_fmac_f32_e32 v75, v138, v171
	;; [unrolled: 2-line block ×8, first 2 shown]
	ds_write2st64_b64 v175, v[173:174], v[153:154] offset0:1 offset1:4
	ds_write2st64_b64 v175, v[155:156], v[157:158] offset0:7 offset1:10
	;; [unrolled: 1-line block ×5, first 2 shown]
.LBB0_13:
	s_or_b64 exec, exec, s[4:5]
	s_waitcnt lgkmcnt(0)
	s_barrier
	ds_read2st64_b64 v[76:79], v144 offset0:3 offset1:6
	ds_read2st64_b64 v[72:75], v144 offset0:9 offset1:12
	;; [unrolled: 1-line block ×4, first 2 shown]
	ds_read_b64 v[135:136], v145
	ds_read_b64 v[137:138], v144 offset:13824
	s_and_saveexec_b64 s[4:5], s[0:1]
	s_cbranch_execz .LBB0_15
; %bb.14:
	v_add_u32_e32 v24, 0x1c0, v144
	ds_read2st64_b64 v[60:63], v24 offset0:1 offset1:16
	v_lshlrev_b32_e32 v24, 3, v146
	v_lshl_add_u32 v24, v139, 3, v24
	v_add_u32_e32 v24, 0x1c0, v24
	ds_read2st64_b64 v[64:67], v24 offset0:4 offset1:7
	ds_read2st64_b64 v[68:71], v24 offset0:10 offset1:13
	ds_read2st64_b64 v[56:59], v24 offset0:19 offset1:22
	ds_read2st64_b64 v[24:27], v24 offset0:25 offset1:28
.LBB0_15:
	s_or_b64 exec, exec, s[4:5]
	s_waitcnt lgkmcnt(1)
	v_add_f32_e32 v153, v135, v78
	v_add_f32_e32 v153, v153, v74
	;; [unrolled: 1-line block ×5, first 2 shown]
	v_fma_f32 v156, -0.5, v153, v135
	v_sub_f32_e32 v153, v79, v87
	v_mov_b32_e32 v157, v156
	v_fmac_f32_e32 v157, 0xbf737871, v153
	v_sub_f32_e32 v154, v75, v83
	v_sub_f32_e32 v158, v78, v74
	;; [unrolled: 1-line block ×3, first 2 shown]
	v_fmac_f32_e32 v156, 0x3f737871, v153
	v_fmac_f32_e32 v157, 0xbf167918, v154
	v_add_f32_e32 v158, v158, v159
	v_fmac_f32_e32 v156, 0x3f167918, v154
	v_fmac_f32_e32 v157, 0x3e9e377a, v158
	;; [unrolled: 1-line block ×3, first 2 shown]
	v_add_f32_e32 v158, v78, v86
	v_fma_f32 v135, -0.5, v158, v135
	v_mov_b32_e32 v158, v135
	v_fmac_f32_e32 v158, 0x3f737871, v154
	v_fmac_f32_e32 v135, 0xbf737871, v154
	;; [unrolled: 1-line block ×4, first 2 shown]
	v_add_f32_e32 v153, v136, v79
	v_add_f32_e32 v153, v153, v75
	v_sub_f32_e32 v159, v74, v78
	v_sub_f32_e32 v160, v82, v86
	v_add_f32_e32 v153, v153, v83
	v_add_f32_e32 v159, v159, v160
	v_add_f32_e32 v160, v153, v87
	v_add_f32_e32 v153, v75, v83
	v_fma_f32 v161, -0.5, v153, v136
	v_sub_f32_e32 v78, v78, v86
	v_mov_b32_e32 v162, v161
	v_fmac_f32_e32 v162, 0x3f737871, v78
	v_sub_f32_e32 v74, v74, v82
	v_sub_f32_e32 v82, v79, v75
	;; [unrolled: 1-line block ×3, first 2 shown]
	v_fmac_f32_e32 v161, 0xbf737871, v78
	v_fmac_f32_e32 v162, 0x3f167918, v74
	v_add_f32_e32 v82, v82, v86
	v_fmac_f32_e32 v161, 0xbf167918, v74
	v_fmac_f32_e32 v162, 0x3e9e377a, v82
	;; [unrolled: 1-line block ×3, first 2 shown]
	v_add_f32_e32 v82, v79, v87
	v_fmac_f32_e32 v136, -0.5, v82
	v_mov_b32_e32 v163, v136
	v_fmac_f32_e32 v163, 0xbf737871, v74
	v_sub_f32_e32 v75, v75, v79
	v_sub_f32_e32 v79, v83, v87
	v_fmac_f32_e32 v136, 0x3f737871, v74
	v_fmac_f32_e32 v163, 0x3f167918, v78
	v_add_f32_e32 v75, v75, v79
	v_fmac_f32_e32 v136, 0xbf167918, v78
	v_fmac_f32_e32 v163, 0x3e9e377a, v75
	;; [unrolled: 1-line block ×3, first 2 shown]
	v_add_f32_e32 v75, v80, v84
	v_fma_f32 v75, -0.5, v75, v76
	s_waitcnt lgkmcnt(0)
	v_sub_f32_e32 v78, v73, v138
	v_mov_b32_e32 v79, v75
	v_fmac_f32_e32 v79, 0xbf737871, v78
	v_sub_f32_e32 v82, v81, v85
	v_sub_f32_e32 v83, v72, v80
	v_sub_f32_e32 v86, v137, v84
	v_fmac_f32_e32 v75, 0x3f737871, v78
	v_fmac_f32_e32 v79, 0xbf167918, v82
	v_add_f32_e32 v83, v83, v86
	v_fmac_f32_e32 v75, 0x3f167918, v82
	v_fmac_f32_e32 v79, 0x3e9e377a, v83
	;; [unrolled: 1-line block ×3, first 2 shown]
	v_add_f32_e32 v83, v72, v137
	v_add_f32_e32 v74, v76, v72
	v_fma_f32 v76, -0.5, v83, v76
	v_mov_b32_e32 v87, v76
	v_fmac_f32_e32 v87, 0x3f737871, v82
	v_sub_f32_e32 v83, v80, v72
	v_sub_f32_e32 v86, v84, v137
	v_fmac_f32_e32 v76, 0xbf737871, v82
	v_add_f32_e32 v82, v81, v85
	v_fmac_f32_e32 v87, 0xbf167918, v78
	v_add_f32_e32 v83, v83, v86
	v_fmac_f32_e32 v76, 0x3f167918, v78
	v_fma_f32 v154, -0.5, v82, v77
	v_add_f32_e32 v74, v74, v80
	v_fmac_f32_e32 v87, 0x3e9e377a, v83
	v_fmac_f32_e32 v76, 0x3e9e377a, v83
	v_sub_f32_e32 v72, v72, v137
	v_mov_b32_e32 v83, v154
	v_add_f32_e32 v74, v74, v84
	v_fmac_f32_e32 v83, 0x3f737871, v72
	v_sub_f32_e32 v80, v80, v84
	v_sub_f32_e32 v82, v73, v81
	;; [unrolled: 1-line block ×3, first 2 shown]
	v_fmac_f32_e32 v154, 0xbf737871, v72
	v_fmac_f32_e32 v83, 0x3f167918, v80
	v_add_f32_e32 v82, v82, v84
	v_fmac_f32_e32 v154, 0xbf167918, v80
	v_fmac_f32_e32 v83, 0x3e9e377a, v82
	;; [unrolled: 1-line block ×3, first 2 shown]
	v_add_f32_e32 v82, v73, v138
	v_add_f32_e32 v78, v77, v73
	v_fma_f32 v77, -0.5, v82, v77
	v_add_f32_e32 v74, v74, v137
	v_mov_b32_e32 v137, v77
	v_add_f32_e32 v78, v78, v81
	v_fmac_f32_e32 v137, 0xbf737871, v80
	v_sub_f32_e32 v73, v81, v73
	v_sub_f32_e32 v81, v85, v138
	v_fmac_f32_e32 v137, 0x3f167918, v72
	v_add_f32_e32 v73, v73, v81
	v_fmac_f32_e32 v77, 0x3f737871, v80
	v_fmac_f32_e32 v137, 0x3e9e377a, v73
	;; [unrolled: 1-line block ×4, first 2 shown]
	v_mul_f32_e32 v73, 0xbf737871, v137
	v_fmac_f32_e32 v158, 0x3e9e377a, v159
	v_add_f32_e32 v78, v78, v85
	v_fmac_f32_e32 v73, 0x3e9e377a, v87
	v_fmac_f32_e32 v135, 0x3e9e377a, v159
	v_add_f32_e32 v78, v78, v138
	v_add_f32_e32 v84, v158, v73
	v_mul_f32_e32 v138, 0xbf737871, v77
	v_mul_f32_e32 v77, 0xbe9e377a, v77
	v_sub_f32_e32 v159, v158, v73
	v_add_f32_e32 v73, v56, v70
	v_add_f32_e32 v80, v155, v74
	v_fmac_f32_e32 v138, 0xbe9e377a, v76
	v_mul_f32_e32 v164, 0xbf167918, v154
	v_fmac_f32_e32 v77, 0x3f737871, v76
	v_mul_f32_e32 v76, 0xbf4f1bbd, v154
	v_sub_f32_e32 v155, v155, v74
	v_fma_f32 v74, -0.5, v73, v60
	v_fmac_f32_e32 v164, 0xbf4f1bbd, v75
	v_mul_f32_e32 v165, 0x3e9e377a, v137
	v_fmac_f32_e32 v76, 0x3f167918, v75
	v_sub_f32_e32 v75, v67, v25
	v_mov_b32_e32 v73, v74
	v_add_f32_e32 v86, v135, v138
	v_add_f32_e32 v153, v156, v164
	;; [unrolled: 1-line block ×3, first 2 shown]
	v_fmac_f32_e32 v165, 0x3f737871, v87
	v_add_f32_e32 v87, v136, v77
	v_add_f32_e32 v154, v161, v76
	v_sub_f32_e32 v135, v135, v138
	v_sub_f32_e32 v137, v156, v164
	;; [unrolled: 1-line block ×5, first 2 shown]
	v_fmac_f32_e32 v73, 0xbf737871, v75
	v_sub_f32_e32 v76, v71, v57
	v_sub_f32_e32 v77, v66, v70
	;; [unrolled: 1-line block ×3, first 2 shown]
	v_fmac_f32_e32 v74, 0x3f737871, v75
	v_mul_f32_e32 v72, 0xbf167918, v83
	v_fmac_f32_e32 v73, 0xbf167918, v76
	v_add_f32_e32 v77, v78, v77
	v_fmac_f32_e32 v74, 0x3f167918, v76
	v_fmac_f32_e32 v72, 0x3f4f1bbd, v79
	;; [unrolled: 1-line block ×4, first 2 shown]
	v_add_f32_e32 v77, v24, v66
	v_add_f32_e32 v82, v157, v72
	v_sub_f32_e32 v157, v157, v72
	v_add_f32_e32 v72, v66, v60
	v_fmac_f32_e32 v60, -0.5, v77
	v_mov_b32_e32 v161, v60
	v_add_f32_e32 v72, v70, v72
	v_fmac_f32_e32 v161, 0x3f737871, v76
	v_fmac_f32_e32 v60, 0xbf737871, v76
	v_add_f32_e32 v76, v57, v71
	v_add_f32_e32 v72, v56, v72
	v_sub_f32_e32 v77, v70, v66
	v_sub_f32_e32 v78, v56, v24
	v_fma_f32 v76, -0.5, v76, v61
	v_add_f32_e32 v72, v24, v72
	v_fmac_f32_e32 v161, 0xbf167918, v75
	v_add_f32_e32 v77, v78, v77
	v_fmac_f32_e32 v60, 0x3f167918, v75
	v_sub_f32_e32 v24, v66, v24
	v_mov_b32_e32 v66, v76
	v_fmac_f32_e32 v161, 0x3e9e377a, v77
	v_fmac_f32_e32 v60, 0x3e9e377a, v77
	v_fmac_f32_e32 v66, 0x3f737871, v24
	v_sub_f32_e32 v56, v70, v56
	v_sub_f32_e32 v70, v67, v71
	;; [unrolled: 1-line block ×3, first 2 shown]
	v_fmac_f32_e32 v76, 0xbf737871, v24
	v_fmac_f32_e32 v66, 0x3f167918, v56
	v_add_f32_e32 v70, v77, v70
	v_fmac_f32_e32 v76, 0xbf167918, v56
	v_mul_f32_e32 v79, 0x3f167918, v79
	v_fmac_f32_e32 v66, 0x3e9e377a, v70
	v_fmac_f32_e32 v76, 0x3e9e377a, v70
	v_add_f32_e32 v70, v25, v67
	v_fmac_f32_e32 v79, 0x3f4f1bbd, v83
	v_add_f32_e32 v75, v67, v61
	v_fmac_f32_e32 v61, -0.5, v70
	v_add_f32_e32 v83, v162, v79
	v_sub_f32_e32 v158, v162, v79
	v_mov_b32_e32 v162, v61
	v_fmac_f32_e32 v162, 0xbf737871, v56
	v_fmac_f32_e32 v61, 0x3f737871, v56
	v_add_f32_e32 v75, v71, v75
	v_fmac_f32_e32 v162, 0x3f167918, v24
	v_fmac_f32_e32 v61, 0xbf167918, v24
	v_add_f32_e32 v24, v68, v64
	v_add_f32_e32 v75, v57, v75
	;; [unrolled: 1-line block ×4, first 2 shown]
	v_sub_f32_e32 v67, v71, v67
	v_sub_f32_e32 v25, v57, v25
	v_add_f32_e32 v24, v58, v24
	v_add_f32_e32 v25, v25, v67
	;; [unrolled: 1-line block ×4, first 2 shown]
	v_fma_f32 v57, -0.5, v24, v64
	v_fmac_f32_e32 v162, 0x3e9e377a, v25
	v_fmac_f32_e32 v61, 0x3e9e377a, v25
	v_sub_f32_e32 v24, v69, v27
	v_mov_b32_e32 v25, v57
	v_fmac_f32_e32 v25, 0xbf737871, v24
	v_sub_f32_e32 v56, v63, v59
	v_sub_f32_e32 v70, v68, v62
	;; [unrolled: 1-line block ×3, first 2 shown]
	v_fmac_f32_e32 v57, 0x3f737871, v24
	v_fmac_f32_e32 v25, 0xbf167918, v56
	v_add_f32_e32 v70, v71, v70
	v_fmac_f32_e32 v57, 0x3f167918, v56
	v_fmac_f32_e32 v25, 0x3e9e377a, v70
	v_fmac_f32_e32 v57, 0x3e9e377a, v70
	v_add_f32_e32 v70, v26, v68
	v_fmac_f32_e32 v64, -0.5, v70
	v_mov_b32_e32 v78, v64
	v_fmac_f32_e32 v78, 0x3f737871, v56
	v_fmac_f32_e32 v64, 0xbf737871, v56
	;; [unrolled: 1-line block ×4, first 2 shown]
	v_add_f32_e32 v24, v69, v65
	v_sub_f32_e32 v70, v62, v68
	v_sub_f32_e32 v71, v58, v26
	v_add_f32_e32 v24, v63, v24
	v_add_f32_e32 v70, v71, v70
	;; [unrolled: 1-line block ×3, first 2 shown]
	v_fmac_f32_e32 v78, 0x3e9e377a, v70
	v_fmac_f32_e32 v64, 0x3e9e377a, v70
	v_add_f32_e32 v70, v27, v24
	v_add_f32_e32 v24, v63, v59
	v_fma_f32 v79, -0.5, v24, v65
	v_sub_f32_e32 v24, v68, v26
	v_mov_b32_e32 v77, v79
	v_fmac_f32_e32 v77, 0x3f737871, v24
	v_sub_f32_e32 v26, v62, v58
	v_sub_f32_e32 v56, v69, v63
	;; [unrolled: 1-line block ×3, first 2 shown]
	v_fmac_f32_e32 v79, 0xbf737871, v24
	v_fmac_f32_e32 v77, 0x3f167918, v26
	v_add_f32_e32 v56, v58, v56
	v_fmac_f32_e32 v79, 0xbf167918, v26
	v_fmac_f32_e32 v77, 0x3e9e377a, v56
	;; [unrolled: 1-line block ×3, first 2 shown]
	v_add_f32_e32 v56, v27, v69
	v_fmac_f32_e32 v65, -0.5, v56
	v_mov_b32_e32 v58, v65
	v_fmac_f32_e32 v58, 0xbf737871, v26
	v_sub_f32_e32 v56, v63, v69
	v_sub_f32_e32 v27, v59, v27
	v_fmac_f32_e32 v58, 0x3f167918, v24
	v_add_f32_e32 v27, v27, v56
	v_fmac_f32_e32 v65, 0x3f737871, v26
	v_fmac_f32_e32 v58, 0x3e9e377a, v27
	;; [unrolled: 1-line block ×3, first 2 shown]
	v_add_f32_e32 v85, v163, v165
	v_sub_f32_e32 v160, v163, v165
	v_fmac_f32_e32 v65, 0x3e9e377a, v27
	v_mul_f32_e32 v59, 0xbf737871, v58
	v_mul_f32_e32 v163, 0x3e9e377a, v58
	;; [unrolled: 1-line block ×3, first 2 shown]
	v_fmac_f32_e32 v59, 0x3e9e377a, v78
	v_mul_f32_e32 v69, 0xbf737871, v65
	v_mul_f32_e32 v71, 0xbf167918, v79
	;; [unrolled: 1-line block ×3, first 2 shown]
	v_fmac_f32_e32 v163, 0x3f737871, v78
	v_mul_f32_e32 v78, 0xbe9e377a, v65
	v_mul_f32_e32 v79, 0xbf4f1bbd, v79
	v_fmac_f32_e32 v68, 0x3f4f1bbd, v25
	v_fmac_f32_e32 v69, 0xbe9e377a, v64
	;; [unrolled: 1-line block ×6, first 2 shown]
	v_add_f32_e32 v24, v161, v59
	v_add_f32_e32 v26, v60, v69
	;; [unrolled: 1-line block ×6, first 2 shown]
	v_sub_f32_e32 v58, v72, v67
	v_sub_f32_e32 v62, v73, v68
	;; [unrolled: 1-line block ×6, first 2 shown]
	s_barrier
	ds_write_b128 v147, v[80:83]
	ds_write_b128 v147, v[84:87] offset:16
	ds_write_b128 v147, v[153:156] offset:32
	;; [unrolled: 1-line block ×4, first 2 shown]
	s_and_saveexec_b64 s[4:5], s[0:1]
	s_cbranch_execz .LBB0_17
; %bb.16:
	v_sub_f32_e32 v81, v76, v79
	v_sub_f32_e32 v79, v61, v78
	;; [unrolled: 1-line block ×4, first 2 shown]
	v_add_f32_e32 v71, v66, v77
	v_add_f32_e32 v69, v70, v75
	v_add_f32_e32 v70, v73, v68
	v_add_f32_e32 v68, v67, v72
	v_add_lshl_u32 v60, v146, v148, 3
	ds_write_b128 v60, v[68:71]
	ds_write_b128 v60, v[24:27] offset:16
	ds_write_b128 v60, v[56:59] offset:32
	;; [unrolled: 1-line block ×4, first 2 shown]
.LBB0_17:
	s_or_b64 exec, exec, s[4:5]
	v_add_u32_e32 v60, 0x300, v144
	s_waitcnt lgkmcnt(0)
	s_barrier
	ds_read2_b64 v[66:69], v60 offset0:24 offset1:224
	v_add_u32_e32 v60, 0xd00, v144
	ds_read2_b64 v[82:85], v60 offset0:24 offset1:224
	v_add_u32_e32 v60, 0x1700, v144
	;; [unrolled: 2-line block ×4, first 2 shown]
	ds_read2_b64 v[70:73], v60 offset0:24 offset1:224
	ds_read_b64 v[60:61], v145
	ds_read_b64 v[86:87], v144 offset:13760
	s_and_saveexec_b64 s[4:5], s[2:3]
	s_cbranch_execz .LBB0_19
; %bb.18:
	v_add_u32_e32 v62, 0x180, v144
	ds_read2st64_b64 v[24:27], v62 offset0:3 offset1:8
	ds_read2st64_b64 v[56:59], v62 offset0:13 offset1:18
	ds_read2st64_b64 v[62:65], v62 offset0:23 offset1:28
.LBB0_19:
	s_or_b64 exec, exec, s[4:5]
	s_waitcnt lgkmcnt(6)
	v_mul_f32_e32 v138, v17, v69
	v_mul_f32_e32 v17, v17, v68
	v_fmac_f32_e32 v138, v16, v68
	v_fma_f32 v16, v16, v69, -v17
	s_waitcnt lgkmcnt(5)
	v_mul_f32_e32 v17, v19, v85
	v_mul_f32_e32 v19, v19, v84
	v_fmac_f32_e32 v17, v18, v84
	v_fma_f32 v18, v18, v85, -v19
	;; [unrolled: 5-line block ×4, first 2 shown]
	s_waitcnt lgkmcnt(2)
	v_mul_f32_e32 v11, v114, v73
	v_mul_f32_e32 v69, v21, v83
	;; [unrolled: 1-line block ×3, first 2 shown]
	v_fmac_f32_e32 v11, v113, v72
	v_mul_f32_e32 v68, v114, v72
	v_fmac_f32_e32 v69, v20, v82
	v_fma_f32 v72, v20, v83, -v21
	v_mul_f32_e32 v20, v23, v79
	v_mul_f32_e32 v21, v23, v78
	v_fmac_f32_e32 v20, v22, v78
	v_fma_f32 v21, v22, v79, -v21
	v_mul_f32_e32 v22, v13, v75
	v_mul_f32_e32 v13, v13, v74
	v_fma_f32 v68, v113, v73, -v68
	v_fmac_f32_e32 v22, v12, v74
	v_fma_f32 v23, v12, v75, -v13
	v_mul_f32_e32 v73, v15, v71
	v_mul_f32_e32 v12, v15, v70
	v_fmac_f32_e32 v73, v14, v70
	v_fma_f32 v70, v14, v71, -v12
	s_waitcnt lgkmcnt(0)
	v_mul_f32_e32 v12, v116, v86
	v_fma_f32 v74, v115, v87, -v12
	v_add_f32_e32 v12, v60, v17
	v_add_f32_e32 v14, v12, v9
	;; [unrolled: 1-line block ×3, first 2 shown]
	v_fma_f32 v15, -0.5, v12, v60
	v_sub_f32_e32 v12, v18, v10
	v_mov_b32_e32 v60, v15
	v_fmac_f32_e32 v60, 0xbf5db3d7, v12
	v_fmac_f32_e32 v15, 0x3f5db3d7, v12
	v_add_f32_e32 v12, v61, v18
	v_add_f32_e32 v75, v12, v10
	;; [unrolled: 1-line block ×3, first 2 shown]
	v_fmac_f32_e32 v61, -0.5, v10
	v_sub_f32_e32 v9, v17, v9
	v_mov_b32_e32 v17, v61
	v_fmac_f32_e32 v17, 0x3f5db3d7, v9
	v_fmac_f32_e32 v61, 0xbf5db3d7, v9
	v_add_f32_e32 v9, v138, v19
	v_add_f32_e32 v18, v9, v11
	;; [unrolled: 1-line block ×3, first 2 shown]
	v_fmac_f32_e32 v138, -0.5, v9
	v_sub_f32_e32 v9, v8, v68
	v_mov_b32_e32 v13, v138
	v_fmac_f32_e32 v13, 0xbf5db3d7, v9
	v_fmac_f32_e32 v138, 0x3f5db3d7, v9
	v_add_f32_e32 v9, v16, v8
	v_add_f32_e32 v8, v8, v68
	v_fmac_f32_e32 v16, -0.5, v8
	v_sub_f32_e32 v8, v19, v11
	v_mov_b32_e32 v11, v16
	v_fmac_f32_e32 v11, 0x3f5db3d7, v8
	v_fmac_f32_e32 v16, 0xbf5db3d7, v8
	v_mul_f32_e32 v19, 0xbf5db3d7, v11
	v_add_f32_e32 v76, v9, v68
	v_fmac_f32_e32 v19, 0.5, v13
	v_mul_f32_e32 v68, 0xbf5db3d7, v16
	v_add_f32_e32 v10, v60, v19
	v_fmac_f32_e32 v68, -0.5, v138
	v_mul_f32_e32 v78, -0.5, v16
	v_sub_f32_e32 v16, v60, v19
	v_add_f32_e32 v60, v66, v20
	v_add_f32_e32 v8, v14, v18
	;; [unrolled: 1-line block ×3, first 2 shown]
	v_sub_f32_e32 v14, v14, v18
	v_sub_f32_e32 v18, v15, v68
	v_add_f32_e32 v68, v60, v73
	v_add_f32_e32 v60, v20, v73
	v_fma_f32 v66, -0.5, v60, v66
	v_add_f32_e32 v9, v75, v76
	v_sub_f32_e32 v15, v75, v76
	v_sub_f32_e32 v60, v21, v70
	v_mov_b32_e32 v75, v66
	v_fmac_f32_e32 v75, 0xbf5db3d7, v60
	v_fmac_f32_e32 v66, 0x3f5db3d7, v60
	v_add_f32_e32 v60, v67, v21
	v_add_f32_e32 v21, v21, v70
	v_fmac_f32_e32 v67, -0.5, v21
	v_mul_f32_e32 v71, v116, v87
	v_sub_f32_e32 v20, v20, v73
	v_mov_b32_e32 v73, v67
	v_fmac_f32_e32 v71, v115, v86
	v_fmac_f32_e32 v73, 0x3f5db3d7, v20
	;; [unrolled: 1-line block ×3, first 2 shown]
	v_add_f32_e32 v20, v69, v22
	v_add_f32_e32 v76, v60, v70
	;; [unrolled: 1-line block ×4, first 2 shown]
	v_mul_f32_e32 v77, 0.5, v11
	v_fmac_f32_e32 v78, 0x3f5db3d7, v138
	v_fmac_f32_e32 v69, -0.5, v20
	v_fmac_f32_e32 v77, 0x3f5db3d7, v13
	v_add_f32_e32 v13, v61, v78
	v_sub_f32_e32 v19, v61, v78
	v_sub_f32_e32 v20, v23, v74
	v_mov_b32_e32 v61, v69
	v_fmac_f32_e32 v61, 0xbf5db3d7, v20
	v_fmac_f32_e32 v69, 0x3f5db3d7, v20
	v_add_f32_e32 v20, v72, v23
	v_add_f32_e32 v11, v17, v77
	v_sub_f32_e32 v17, v17, v77
	v_add_f32_e32 v77, v20, v74
	v_add_f32_e32 v20, v23, v74
	v_fmac_f32_e32 v72, -0.5, v20
	v_sub_f32_e32 v20, v22, v71
	v_mov_b32_e32 v23, v72
	v_fmac_f32_e32 v23, 0x3f5db3d7, v20
	v_fmac_f32_e32 v72, 0xbf5db3d7, v20
	v_mul_f32_e32 v71, 0xbf5db3d7, v23
	v_mul_f32_e32 v74, 0xbf5db3d7, v72
	v_mul_f32_e32 v78, 0.5, v23
	v_mul_f32_e32 v72, -0.5, v72
	v_add_u32_e32 v137, 0xf00, v144
	v_add_u32_e32 v136, 0x1680, v144
	;; [unrolled: 1-line block ×3, first 2 shown]
	v_fmac_f32_e32 v71, 0.5, v61
	v_fmac_f32_e32 v74, -0.5, v69
	v_fmac_f32_e32 v78, 0x3f5db3d7, v61
	v_fmac_f32_e32 v72, 0x3f5db3d7, v69
	v_add_f32_e32 v20, v68, v70
	v_add_f32_e32 v22, v75, v71
	;; [unrolled: 1-line block ×6, first 2 shown]
	v_sub_f32_e32 v68, v68, v70
	v_sub_f32_e32 v70, v75, v71
	;; [unrolled: 1-line block ×6, first 2 shown]
	s_barrier
	ds_write2_b64 v151, v[8:9], v[10:11] offset1:10
	ds_write2_b64 v151, v[12:13], v[14:15] offset0:20 offset1:30
	ds_write2_b64 v151, v[16:17], v[18:19] offset0:40 offset1:50
	ds_write2_b64 v152, v[20:21], v[22:23] offset1:10
	ds_write2_b64 v152, v[60:61], v[68:69] offset0:20 offset1:30
	ds_write2_b64 v152, v[70:71], v[66:67] offset0:40 offset1:50
	s_and_saveexec_b64 s[4:5], s[2:3]
	s_cbranch_execz .LBB0_21
; %bb.20:
	v_mul_f32_e32 v13, v5, v59
	v_mul_f32_e32 v14, v112, v65
	;; [unrolled: 1-line block ×3, first 2 shown]
	v_fmac_f32_e32 v13, v4, v58
	v_fmac_f32_e32 v14, v111, v64
	v_mul_f32_e32 v8, v3, v56
	v_mul_f32_e32 v11, v3, v57
	v_fmac_f32_e32 v12, v0, v26
	v_add_f32_e32 v3, v13, v14
	v_fma_f32 v15, -0.5, v3, v12
	v_mul_f32_e32 v3, v5, v58
	v_fma_f32 v4, v4, v59, -v3
	v_mul_f32_e32 v3, v112, v64
	v_fma_f32 v5, v111, v65, -v3
	v_mul_f32_e32 v1, v1, v26
	v_mul_f32_e32 v9, v7, v62
	v_fma_f32 v0, v0, v27, -v1
	v_add_f32_e32 v1, v4, v5
	v_fma_f32 v8, v2, v57, -v8
	v_fma_f32 v9, v6, v63, -v9
	v_fma_f32 v17, -0.5, v1, v0
	v_add_f32_e32 v10, v9, v8
	v_mul_f32_e32 v7, v7, v63
	v_sub_f32_e32 v18, v13, v14
	v_mov_b32_e32 v19, v17
	v_fma_f32 v10, -0.5, v10, v25
	v_fmac_f32_e32 v11, v2, v56
	v_fmac_f32_e32 v7, v6, v62
	v_sub_f32_e32 v3, v4, v5
	v_mov_b32_e32 v16, v15
	v_fmac_f32_e32 v19, 0xbf5db3d7, v18
	v_add_f32_e32 v0, v4, v0
	v_sub_f32_e32 v2, v11, v7
	v_mov_b32_e32 v6, v10
	v_fmac_f32_e32 v16, 0x3f5db3d7, v3
	v_mul_f32_e32 v20, -0.5, v19
	v_fmac_f32_e32 v17, 0x3f5db3d7, v18
	v_add_f32_e32 v22, v5, v0
	v_add_f32_e32 v0, v7, v11
	v_mul_f32_e32 v19, 0xbf5db3d7, v19
	v_fmac_f32_e32 v6, 0xbf5db3d7, v2
	v_fmac_f32_e32 v20, 0x3f5db3d7, v16
	;; [unrolled: 1-line block ×4, first 2 shown]
	v_mul_f32_e32 v18, 0.5, v17
	v_add_f32_e32 v2, v8, v25
	v_fma_f32 v23, -0.5, v0, v24
	v_fmac_f32_e32 v19, -0.5, v16
	v_mul_f32_e32 v16, 0xbf5db3d7, v17
	v_add_f32_e32 v4, v11, v24
	v_fmac_f32_e32 v18, 0x3f5db3d7, v15
	v_add_f32_e32 v21, v9, v2
	v_sub_f32_e32 v2, v8, v9
	v_mov_b32_e32 v8, v23
	v_fmac_f32_e32 v16, 0.5, v15
	v_add_f32_e32 v15, v7, v4
	v_add_f32_e32 v4, v13, v12
	v_fmac_f32_e32 v8, 0x3f5db3d7, v2
	v_fmac_f32_e32 v23, 0xbf5db3d7, v2
	v_add_f32_e32 v12, v14, v4
	v_sub_f32_e32 v1, v6, v20
	v_sub_f32_e32 v3, v10, v18
	;; [unrolled: 1-line block ×4, first 2 shown]
	v_add_f32_e32 v7, v6, v20
	v_add_f32_e32 v9, v10, v18
	;; [unrolled: 1-line block ×6, first 2 shown]
	v_add_lshl_u32 v12, v146, v149, 3
	v_sub_f32_e32 v5, v21, v22
	v_sub_f32_e32 v2, v23, v16
	ds_write2_b64 v12, v[10:11], v[8:9] offset1:10
	ds_write2_b64 v12, v[6:7], v[4:5] offset0:20 offset1:30
	ds_write2_b64 v12, v[2:3], v[0:1] offset0:40 offset1:50
.LBB0_21:
	s_or_b64 exec, exec, s[4:5]
	v_mad_u64_u32 v[0:1], s[2:3], s10, v110, 0
	s_waitcnt lgkmcnt(0)
	s_barrier
	v_mad_u64_u32 v[60:61], s[2:3], s11, v110, v[1:2]
	ds_read2_b64 v[1:4], v144 offset0:120 offset1:240
	v_add_u32_e32 v63, 0x800, v144
	ds_read2_b64 v[5:8], v63 offset0:104 offset1:224
	v_add_u32_e32 v64, 0x1000, v144
	ds_read2_b64 v[9:12], v64 offset0:88 offset1:208
	s_waitcnt lgkmcnt(2)
	v_mul_f32_e32 v27, v49, v2
	v_fmac_f32_e32 v27, v48, v1
	v_mul_f32_e32 v1, v49, v1
	v_fma_f32 v1, v48, v2, -v1
	v_mul_f32_e32 v2, v51, v4
	v_fmac_f32_e32 v2, v50, v3
	v_mul_f32_e32 v3, v51, v3
	v_fma_f32 v3, v50, v4, -v3
	s_waitcnt lgkmcnt(1)
	v_mul_f32_e32 v4, v41, v6
	v_fmac_f32_e32 v4, v40, v5
	v_mul_f32_e32 v5, v41, v5
	v_add_u32_e32 v65, 0x1800, v144
	v_fma_f32 v5, v40, v6, -v5
	v_mul_f32_e32 v6, v43, v8
	ds_read2_b64 v[13:16], v65 offset0:72 offset1:192
	v_fmac_f32_e32 v6, v42, v7
	v_mul_f32_e32 v7, v43, v7
	v_fma_f32 v7, v42, v8, -v7
	s_waitcnt lgkmcnt(1)
	v_mul_f32_e32 v8, v33, v10
	v_fmac_f32_e32 v8, v32, v9
	v_mul_f32_e32 v9, v33, v9
	v_add_u32_e32 v66, 0x2000, v144
	v_fma_f32 v9, v32, v10, -v9
	v_mul_f32_e32 v10, v35, v12
	ds_read2_b64 v[17:20], v66 offset0:56 offset1:176
	;; [unrolled: 11-line block ×3, first 2 shown]
	v_fmac_f32_e32 v14, v30, v15
	v_mul_f32_e32 v15, v31, v15
	v_fma_f32 v15, v30, v16, -v15
	s_waitcnt lgkmcnt(1)
	v_mul_f32_e32 v16, v53, v18
	v_fmac_f32_e32 v16, v52, v17
	v_mul_f32_e32 v17, v53, v17
	v_fma_f32 v17, v52, v18, -v17
	v_mul_f32_e32 v18, v55, v20
	v_add_u32_e32 v68, 0x3000, v144
	v_fmac_f32_e32 v18, v54, v19
	v_mul_f32_e32 v19, v55, v19
	ds_read2_b64 v[56:59], v68 offset0:24 offset1:144
	ds_read_b64 v[25:26], v145
	ds_read_b64 v[61:62], v144 offset:14400
	v_fma_f32 v19, v54, v20, -v19
	s_waitcnt lgkmcnt(3)
	v_mul_f32_e32 v20, v45, v22
	v_fmac_f32_e32 v20, v44, v21
	v_mul_f32_e32 v21, v45, v21
	v_fma_f32 v21, v44, v22, -v21
	v_mul_f32_e32 v22, v47, v24
	v_fmac_f32_e32 v22, v46, v23
	v_mul_f32_e32 v23, v47, v23
	s_waitcnt lgkmcnt(2)
	v_mul_f32_e32 v29, v39, v59
	v_mul_f32_e32 v30, v39, v58
	v_fma_f32 v23, v46, v24, -v23
	v_fmac_f32_e32 v29, v38, v58
	v_fma_f32 v30, v38, v59, -v30
	s_waitcnt lgkmcnt(1)
	v_sub_f32_e32 v14, v25, v14
	v_sub_f32_e32 v15, v26, v15
	;; [unrolled: 1-line block ×8, first 2 shown]
	v_mul_f32_e32 v24, v37, v57
	s_waitcnt lgkmcnt(0)
	v_mul_f32_e32 v31, v118, v62
	v_fma_f32 v25, v25, 2.0, -v14
	v_fma_f32 v26, v26, 2.0, -v15
	;; [unrolled: 1-line block ×8, first 2 shown]
	v_fmac_f32_e32 v24, v36, v56
	v_fmac_f32_e32 v31, v117, v61
	v_sub_f32_e32 v6, v25, v6
	v_sub_f32_e32 v7, v26, v7
	;; [unrolled: 1-line block ×4, first 2 shown]
	v_mul_f32_e32 v28, v37, v56
	v_sub_f32_e32 v16, v27, v16
	v_sub_f32_e32 v24, v8, v24
	;; [unrolled: 1-line block ×4, first 2 shown]
	v_fma_f32 v25, v25, 2.0, -v6
	v_fma_f32 v26, v26, 2.0, -v7
	v_add_f32_e32 v23, v14, v23
	v_fma_f32 v2, v2, 2.0, -v10
	v_fma_f32 v3, v3, 2.0, -v11
	v_fma_f32 v28, v36, v57, -v28
	v_mul_f32_e32 v32, v118, v61
	v_fma_f32 v27, v27, 2.0, -v16
	v_fma_f32 v8, v8, 2.0, -v24
	;; [unrolled: 1-line block ×4, first 2 shown]
	v_sub_f32_e32 v22, v15, v22
	v_fma_f32 v14, v14, 2.0, -v23
	v_add_f32_e32 v30, v18, v30
	v_sub_f32_e32 v33, v25, v2
	v_sub_f32_e32 v34, v26, v3
	v_mov_b32_e32 v38, v23
	v_fma_f32 v32, v117, v62, -v32
	v_sub_f32_e32 v28, v9, v28
	v_fma_f32 v15, v15, 2.0, -v22
	v_sub_f32_e32 v29, v19, v29
	v_fma_f32 v18, v18, 2.0, -v30
	v_sub_f32_e32 v8, v27, v8
	v_sub_f32_e32 v12, v4, v12
	v_fma_f32 v3, v25, 2.0, -v33
	v_fma_f32 v25, v26, 2.0, -v34
	v_mov_b32_e32 v26, v14
	v_fmac_f32_e32 v38, 0x3f3504f3, v30
	v_sub_f32_e32 v17, v1, v17
	v_fma_f32 v9, v9, 2.0, -v28
	v_sub_f32_e32 v32, v13, v32
	v_fma_f32 v19, v19, 2.0, -v29
	v_fma_f32 v27, v27, 2.0, -v8
	v_add_f32_e32 v28, v16, v28
	v_fma_f32 v4, v4, 2.0, -v12
	v_fmac_f32_e32 v26, 0xbf3504f3, v18
	v_mov_b32_e32 v35, v15
	v_fmac_f32_e32 v38, 0x3f3504f3, v29
	v_sub_f32_e32 v21, v5, v21
	v_fma_f32 v13, v13, 2.0, -v32
	v_sub_f32_e32 v24, v17, v24
	v_fma_f32 v16, v16, 2.0, -v28
	v_add_f32_e32 v32, v20, v32
	v_fmac_f32_e32 v35, 0xbf3504f3, v19
	v_fmac_f32_e32 v26, 0x3f3504f3, v19
	v_mov_b32_e32 v39, v22
	v_fma_f32 v19, v23, 2.0, -v38
	v_sub_f32_e32 v23, v27, v4
	v_fma_f32 v1, v1, 2.0, -v17
	v_fma_f32 v5, v5, 2.0, -v21
	;; [unrolled: 1-line block ×3, first 2 shown]
	v_sub_f32_e32 v31, v21, v31
	v_fma_f32 v20, v20, 2.0, -v32
	v_fmac_f32_e32 v39, 0x3f3504f3, v29
	v_fma_f32 v2, v27, 2.0, -v23
	v_mov_b32_e32 v27, v16
	v_sub_f32_e32 v9, v1, v9
	v_sub_f32_e32 v13, v5, v13
	v_fma_f32 v21, v21, 2.0, -v31
	v_fmac_f32_e32 v39, 0xbf3504f3, v30
	v_fmac_f32_e32 v27, 0xbf3504f3, v20
	v_mov_b32_e32 v30, v17
	v_fma_f32 v1, v1, 2.0, -v9
	v_fma_f32 v5, v5, 2.0, -v13
	v_fmac_f32_e32 v35, 0xbf3504f3, v18
	v_fma_f32 v14, v14, 2.0, -v26
	v_sub_f32_e32 v37, v7, v10
	v_fmac_f32_e32 v30, 0xbf3504f3, v21
	v_fmac_f32_e32 v27, 0x3f3504f3, v21
	v_fma_f32 v15, v15, 2.0, -v35
	v_add_f32_e32 v36, v6, v11
	v_fma_f32 v18, v7, 2.0, -v37
	v_sub_f32_e32 v29, v1, v5
	v_fmac_f32_e32 v30, 0xbf3504f3, v20
	v_fma_f32 v7, v16, 2.0, -v27
	v_mov_b32_e32 v43, v24
	v_mov_b32_e32 v5, v14
	v_fma_f32 v11, v6, 2.0, -v36
	v_fma_f32 v10, v17, 2.0, -v30
	v_mov_b32_e32 v42, v28
	v_fmac_f32_e32 v43, 0x3f3504f3, v31
	v_fmac_f32_e32 v5, 0xbf6c835e, v7
	v_mov_b32_e32 v6, v15
	v_fma_f32 v22, v22, 2.0, -v39
	v_add_f32_e32 v40, v8, v13
	v_sub_f32_e32 v41, v9, v12
	v_fmac_f32_e32 v42, 0x3f3504f3, v32
	v_fmac_f32_e32 v43, 0xbf3504f3, v32
	;; [unrolled: 1-line block ×4, first 2 shown]
	v_fma_f32 v12, v8, 2.0, -v40
	v_fma_f32 v13, v9, 2.0, -v41
	v_fmac_f32_e32 v42, 0x3f3504f3, v31
	v_fma_f32 v17, v24, 2.0, -v43
	v_fmac_f32_e32 v6, 0xbec3ef15, v7
	v_fma_f32 v7, v14, 2.0, -v5
	v_mov_b32_e32 v9, v11
	v_mov_b32_e32 v14, v22
	v_fma_f32 v16, v28, 2.0, -v42
	v_fmac_f32_e32 v9, 0xbf3504f3, v12
	v_mov_b32_e32 v10, v18
	v_fmac_f32_e32 v14, 0xbec3ef15, v17
	v_mov_b32_e32 v21, v26
	v_fma_f32 v4, v1, 2.0, -v29
	v_fmac_f32_e32 v10, 0xbf3504f3, v13
	v_fmac_f32_e32 v9, 0x3f3504f3, v13
	v_mov_b32_e32 v13, v19
	v_fmac_f32_e32 v14, 0xbf6c835e, v16
	v_fmac_f32_e32 v21, 0x3ec3ef15, v27
	v_sub_f32_e32 v1, v3, v2
	v_sub_f32_e32 v2, v25, v4
	v_fmac_f32_e32 v10, 0xbf3504f3, v12
	v_fmac_f32_e32 v13, 0xbec3ef15, v16
	v_fma_f32 v16, v22, 2.0, -v14
	v_mov_b32_e32 v22, v35
	v_fmac_f32_e32 v21, 0x3f6c835e, v30
	v_fma_f32 v4, v25, 2.0, -v2
	v_fma_f32 v12, v18, 2.0, -v10
	v_fmac_f32_e32 v13, 0x3f6c835e, v17
	v_add_f32_e32 v17, v33, v29
	v_sub_f32_e32 v18, v34, v23
	v_fmac_f32_e32 v22, 0x3ec3ef15, v30
	v_fma_f32 v23, v26, 2.0, -v21
	v_mov_b32_e32 v25, v36
	v_mov_b32_e32 v26, v37
	;; [unrolled: 1-line block ×4, first 2 shown]
	v_fma_f32 v3, v3, 2.0, -v1
	v_fma_f32 v8, v15, 2.0, -v6
	v_fmac_f32_e32 v22, 0xbf6c835e, v27
	v_fmac_f32_e32 v25, 0x3f3504f3, v40
	;; [unrolled: 1-line block ×5, first 2 shown]
	v_fma_f32 v11, v11, 2.0, -v9
	v_fma_f32 v15, v19, 2.0, -v13
	;; [unrolled: 1-line block ×5, first 2 shown]
	v_fmac_f32_e32 v25, 0x3f3504f3, v41
	v_fmac_f32_e32 v26, 0xbf3504f3, v40
	;; [unrolled: 1-line block ×4, first 2 shown]
	s_barrier
	ds_write2_b64 v150, v[3:4], v[7:8] offset1:60
	ds_write2_b64 v150, v[11:12], v[15:16] offset0:120 offset1:180
	v_add_u32_e32 v3, 0x400, v150
	v_fma_f32 v27, v36, 2.0, -v25
	v_fma_f32 v28, v37, 2.0, -v26
	;; [unrolled: 1-line block ×4, first 2 shown]
	ds_write2_b64 v3, v[19:20], v[23:24] offset0:112 offset1:172
	v_add_u32_e32 v3, 0x800, v150
	ds_write2_b64 v3, v[27:28], v[31:32] offset0:104 offset1:164
	v_add_u32_e32 v3, 0xc00, v150
	ds_write2_b64 v3, v[1:2], v[5:6] offset0:96 offset1:156
	v_add_u32_e32 v1, 0x1000, v150
	ds_write2_b64 v1, v[9:10], v[13:14] offset0:88 offset1:148
	v_add_u32_e32 v1, 0x1400, v150
	ds_write2_b64 v1, v[17:18], v[21:22] offset0:80 offset1:140
	v_add_u32_e32 v1, 0x1800, v150
	ds_write2_b64 v1, v[25:26], v[29:30] offset0:72 offset1:132
	s_waitcnt lgkmcnt(0)
	s_barrier
	ds_read2_b64 v[1:4], v65 offset0:72 offset1:192
	ds_read2_b64 v[5:8], v144 offset0:120 offset1:240
	;; [unrolled: 1-line block ×7, first 2 shown]
	ds_read_b64 v[29:30], v145
	ds_read_b64 v[31:32], v144 offset:14400
	s_waitcnt lgkmcnt(8)
	v_mul_f32_e32 v33, v120, v4
	v_fmac_f32_e32 v33, v119, v3
	v_mul_f32_e32 v3, v120, v3
	v_fma_f32 v4, v119, v4, -v3
	s_waitcnt lgkmcnt(6)
	v_mul_f32_e32 v3, v122, v9
	v_fma_f32 v35, v121, v10, -v3
	v_mul_f32_e32 v3, v124, v11
	v_fma_f32 v37, v123, v12, -v3
	s_waitcnt lgkmcnt(4)
	v_mul_f32_e32 v3, v126, v17
	v_fma_f32 v39, v125, v18, -v3
	v_mul_f32_e32 v3, v128, v19
	v_fma_f32 v41, v127, v20, -v3
	s_waitcnt lgkmcnt(2)
	v_mul_f32_e32 v3, v130, v25
	v_mul_f32_e32 v34, v122, v10
	v_fma_f32 v43, v129, v26, -v3
	v_mul_f32_e32 v3, v132, v27
	v_fmac_f32_e32 v34, v121, v9
	v_mul_f32_e32 v36, v124, v12
	v_mul_f32_e32 v38, v126, v18
	;; [unrolled: 1-line block ×3, first 2 shown]
	v_fma_f32 v45, v131, v28, -v3
	s_waitcnt lgkmcnt(0)
	v_mul_f32_e32 v3, v134, v31
	v_fmac_f32_e32 v36, v123, v11
	v_fmac_f32_e32 v38, v125, v17
	;; [unrolled: 1-line block ×3, first 2 shown]
	v_mul_f32_e32 v42, v130, v26
	v_mul_f32_e32 v44, v132, v28
	;; [unrolled: 1-line block ×3, first 2 shown]
	v_fma_f32 v32, v133, v32, -v3
	v_sub_f32_e32 v3, v29, v33
	v_sub_f32_e32 v4, v30, v4
	;; [unrolled: 1-line block ×3, first 2 shown]
	v_fmac_f32_e32 v42, v129, v25
	v_fmac_f32_e32 v44, v131, v27
	;; [unrolled: 1-line block ×3, first 2 shown]
	v_fma_f32 v9, v29, 2.0, -v3
	v_fma_f32 v10, v30, 2.0, -v4
	v_sub_f32_e32 v12, v6, v35
	v_fma_f32 v5, v5, 2.0, -v11
	v_sub_f32_e32 v17, v7, v36
	v_sub_f32_e32 v18, v8, v37
	v_sub_f32_e32 v19, v13, v38
	v_sub_f32_e32 v20, v14, v39
	v_sub_f32_e32 v25, v15, v40
	v_sub_f32_e32 v26, v16, v41
	v_sub_f32_e32 v32, v2, v32
	v_fma_f32 v6, v6, 2.0, -v12
	v_fma_f32 v7, v7, 2.0, -v17
	;; [unrolled: 1-line block ×7, first 2 shown]
	v_sub_f32_e32 v27, v21, v42
	v_sub_f32_e32 v28, v22, v43
	;; [unrolled: 1-line block ×5, first 2 shown]
	v_fma_f32 v2, v2, 2.0, -v32
	ds_write_b64 v145, v[9:10]
	ds_write2_b64 v144, v[5:6], v[7:8] offset0:120 offset1:240
	ds_write2_b64 v66, v[11:12], v[17:18] offset0:56 offset1:176
	ds_write2_b64 v63, v[13:14], v[15:16] offset0:104 offset1:224
	ds_write_b64 v137, v[25:26] offset:7680
	v_add_u32_e32 v5, 0x2900, v144
	v_fma_f32 v21, v21, 2.0, -v27
	v_fma_f32 v22, v22, 2.0, -v28
	v_fma_f32 v23, v23, 2.0, -v29
	v_fma_f32 v24, v24, 2.0, -v30
	v_fma_f32 v1, v1, 2.0, -v31
	ds_write2_b64 v5, v[19:20], v[27:28] offset0:8 offset1:248
	ds_write2_b64 v64, v[21:22], v[23:24] offset0:88 offset1:208
	ds_write_b64 v136, v[29:30] offset:7680
	ds_write2_b64 v65, v[1:2], v[3:4] offset0:72 offset1:192
	ds_write_b64 v135, v[31:32] offset:7680
	s_waitcnt lgkmcnt(0)
	s_barrier
	ds_read_b64 v[2:3], v145
	ds_read_b64 v[6:7], v144 offset:13824
	s_mov_b32 s2, 0x11111111
	s_mov_b32 s3, 0x3f411111
	v_mad_u64_u32 v[8:9], s[4:5], s8, v139, 0
	s_waitcnt lgkmcnt(1)
	v_mul_f32_e32 v4, v99, v3
	v_fmac_f32_e32 v4, v98, v2
	v_cvt_f64_f32_e32 v[4:5], v4
	v_mul_f32_e32 v2, v99, v2
	v_fma_f32 v2, v98, v3, -v2
	v_cvt_f64_f32_e32 v[2:3], v2
	v_mul_f64 v[4:5], v[4:5], s[2:3]
	v_mov_b32_e32 v1, v60
	v_lshlrev_b64 v[0:1], 3, v[0:1]
	v_mul_f64 v[10:11], v[2:3], s[2:3]
	v_mov_b32_e32 v2, v9
	v_mad_u64_u32 v[12:13], s[4:5], s9, v139, v[2:3]
	v_add_co_u32_e32 v17, vcc, s6, v0
	v_cvt_f32_f64_e32 v13, v[4:5]
	ds_read2st64_b64 v[2:5], v144 offset0:3 offset1:6
	v_cvt_f32_f64_e32 v14, v[10:11]
	v_mov_b32_e32 v9, v12
	v_mov_b32_e32 v12, s7
	v_addc_co_u32_e32 v18, vcc, v12, v1, vcc
	s_waitcnt lgkmcnt(0)
	v_mul_f32_e32 v10, v93, v3
	v_fmac_f32_e32 v10, v92, v2
	v_mul_f32_e32 v2, v93, v2
	v_fma_f32 v2, v92, v3, -v2
	v_cvt_f64_f32_e32 v[10:11], v10
	v_cvt_f64_f32_e32 v[2:3], v2
	v_lshlrev_b64 v[8:9], 3, v[8:9]
	s_mul_i32 s4, s9, 0xc0
	v_mul_f64 v[0:1], v[10:11], s[2:3]
	v_mul_f64 v[2:3], v[2:3], s[2:3]
	s_mul_hi_u32 s5, s8, 0xc0
	v_add_co_u32_e32 v8, vcc, v17, v8
	s_add_i32 s5, s5, s4
	s_mul_i32 s4, s8, 0xc0
	v_addc_co_u32_e32 v9, vcc, v18, v9, vcc
	v_cvt_f32_f64_e32 v0, v[0:1]
	v_cvt_f32_f64_e32 v1, v[2:3]
	v_mul_f32_e32 v2, v91, v5
	v_fmac_f32_e32 v2, v90, v4
	v_cvt_f64_f32_e32 v[2:3], v2
	s_lshl_b64 s[4:5], s[4:5], 3
	global_store_dwordx2 v[8:9], v[13:14], off
	v_mov_b32_e32 v10, s5
	v_mul_f64 v[2:3], v[2:3], s[2:3]
	v_add_co_u32_e32 v8, vcc, s4, v8
	v_addc_co_u32_e32 v9, vcc, v9, v10, vcc
	global_store_dwordx2 v[8:9], v[0:1], off
	v_mul_f32_e32 v0, v91, v4
	v_fma_f32 v0, v90, v5, -v0
	v_cvt_f64_f32_e32 v[4:5], v0
	v_cvt_f32_f64_e32 v12, v[2:3]
	ds_read2st64_b64 v[0:3], v144 offset0:9 offset1:12
	v_mad_u64_u32 v[10:11], s[6:7], s8, v140, 0
	v_mul_f64 v[4:5], v[4:5], s[2:3]
	s_mul_i32 s14, s8, 0xc00
	v_mad_u64_u32 v[14:15], s[6:7], s9, v140, v[11:12]
	s_waitcnt lgkmcnt(0)
	v_mul_f32_e32 v11, v109, v1
	v_fmac_f32_e32 v11, v108, v0
	v_mul_f32_e32 v0, v109, v0
	v_fma_f32 v0, v108, v1, -v0
	v_cvt_f64_f32_e32 v[15:16], v11
	v_cvt_f64_f32_e32 v[0:1], v0
	v_cvt_f32_f64_e32 v13, v[4:5]
	v_mov_b32_e32 v11, v14
	v_mul_f64 v[4:5], v[15:16], s[2:3]
	v_mul_f64 v[0:1], v[0:1], s[2:3]
	v_lshlrev_b64 v[10:11], 3, v[10:11]
	s_mul_i32 s6, s9, 0xc00
	v_add_co_u32_e32 v10, vcc, v17, v10
	s_mul_hi_u32 s7, s8, 0xc00
	v_addc_co_u32_e32 v11, vcc, v18, v11, vcc
	v_cvt_f32_f64_e32 v4, v[4:5]
	v_cvt_f32_f64_e32 v5, v[0:1]
	v_mul_f32_e32 v0, v101, v3
	v_fmac_f32_e32 v0, v100, v2
	v_cvt_f64_f32_e32 v[0:1], v0
	s_add_i32 s13, s7, s6
	global_store_dwordx2 v[10:11], v[12:13], off
	v_mov_b32_e32 v10, s13
	v_add_co_u32_e32 v8, vcc, s14, v8
	v_addc_co_u32_e32 v9, vcc, v9, v10, vcc
	v_mul_f64 v[10:11], v[0:1], s[2:3]
	v_mul_f32_e32 v0, v101, v2
	v_fma_f32 v0, v100, v3, -v0
	v_cvt_f64_f32_e32 v[0:1], v0
	global_store_dwordx2 v[8:9], v[4:5], off
	v_mad_u64_u32 v[4:5], s[6:7], s8, v141, 0
	v_mul_f64 v[12:13], v[0:1], s[2:3]
	ds_read2st64_b64 v[0:3], v144 offset0:15 offset1:18
	v_mad_u64_u32 v[14:15], s[6:7], s9, v141, v[5:6]
	v_cvt_f32_f64_e32 v10, v[10:11]
	s_movk_i32 s10, 0x1000
	s_waitcnt lgkmcnt(0)
	v_mul_f32_e32 v5, v95, v1
	v_fmac_f32_e32 v5, v94, v0
	v_mul_f32_e32 v0, v95, v0
	v_fma_f32 v0, v94, v1, -v0
	v_cvt_f64_f32_e32 v[0:1], v0
	v_cvt_f64_f32_e32 v[15:16], v5
	v_mov_b32_e32 v5, v14
	v_cvt_f32_f64_e32 v11, v[12:13]
	v_lshlrev_b64 v[4:5], 3, v[4:5]
	v_mul_f64 v[0:1], v[0:1], s[2:3]
	v_add_co_u32_e32 v4, vcc, v17, v4
	v_addc_co_u32_e32 v5, vcc, v18, v5, vcc
	global_store_dwordx2 v[4:5], v[10:11], off
	v_mul_f32_e32 v5, v97, v3
	v_fmac_f32_e32 v5, v96, v2
	v_cvt_f64_f32_e32 v[10:11], v5
	v_mul_f64 v[12:13], v[15:16], s[2:3]
	v_mul_f32_e32 v2, v97, v2
	v_fma_f32 v2, v96, v3, -v2
	v_cvt_f32_f64_e32 v5, v[0:1]
	v_mul_f64 v[0:1], v[10:11], s[2:3]
	v_cvt_f64_f32_e32 v[2:3], v2
	v_add_co_u32_e32 v8, vcc, s14, v8
	v_cvt_f32_f64_e32 v4, v[12:13]
	v_mul_f64 v[10:11], v[2:3], s[2:3]
	v_mov_b32_e32 v12, s13
	v_addc_co_u32_e32 v9, vcc, v9, v12, vcc
	v_cvt_f32_f64_e32 v12, v[0:1]
	ds_read2st64_b64 v[0:3], v144 offset0:21 offset1:24
	global_store_dwordx2 v[8:9], v[4:5], off
	v_mad_u64_u32 v[4:5], s[6:7], s8, v142, 0
	v_cvt_f32_f64_e32 v13, v[10:11]
	s_movk_i32 s11, 0x3000
	v_mad_u64_u32 v[10:11], s[6:7], s9, v142, v[5:6]
	s_waitcnt lgkmcnt(0)
	v_mul_f32_e32 v5, v107, v1
	v_fmac_f32_e32 v5, v106, v0
	v_mul_f32_e32 v0, v107, v0
	v_fma_f32 v0, v106, v1, -v0
	v_cvt_f64_f32_e32 v[14:15], v5
	v_cvt_f64_f32_e32 v[0:1], v0
	v_mov_b32_e32 v5, v10
	v_lshlrev_b64 v[4:5], 3, v[4:5]
	v_mul_f64 v[10:11], v[14:15], s[2:3]
	v_mul_f64 v[0:1], v[0:1], s[2:3]
	v_add_co_u32_e32 v4, vcc, v17, v4
	v_addc_co_u32_e32 v5, vcc, v18, v5, vcc
	global_store_dwordx2 v[4:5], v[12:13], off
	v_mul_f32_e32 v4, v103, v3
	v_fmac_f32_e32 v4, v102, v2
	v_cvt_f64_f32_e32 v[4:5], v4
	v_cvt_f32_f64_e32 v10, v[10:11]
	v_cvt_f32_f64_e32 v11, v[0:1]
	v_mul_f32_e32 v2, v103, v2
	v_mul_f64 v[0:1], v[4:5], s[2:3]
	v_mov_b32_e32 v12, s13
	v_add_co_u32_e32 v4, vcc, s14, v8
	v_fma_f32 v2, v102, v3, -v2
	v_addc_co_u32_e32 v5, vcc, v9, v12, vcc
	v_cvt_f64_f32_e32 v[2:3], v2
	v_mad_u64_u32 v[8:9], s[6:7], s8, v143, 0
	v_cvt_f32_f64_e32 v0, v[0:1]
	v_mul_f64 v[1:2], v[2:3], s[2:3]
	v_mov_b32_e32 v3, v9
	global_store_dwordx2 v[4:5], v[10:11], off
	v_mad_u64_u32 v[9:10], s[6:7], s9, v143, v[3:4]
	v_mul_f32_e32 v3, v105, v7
	v_fmac_f32_e32 v3, v104, v6
	v_cvt_f64_f32_e32 v[10:11], v3
	v_mul_f32_e32 v3, v105, v6
	v_fma_f32 v3, v104, v7, -v3
	v_cvt_f64_f32_e32 v[6:7], v3
	v_cvt_f32_f64_e32 v1, v[1:2]
	v_mul_f64 v[2:3], v[10:11], s[2:3]
	v_lshlrev_b64 v[8:9], 3, v[8:9]
	v_mul_f64 v[6:7], v[6:7], s[2:3]
	v_add_co_u32_e32 v8, vcc, v17, v8
	v_addc_co_u32_e32 v9, vcc, v18, v9, vcc
	global_store_dwordx2 v[8:9], v[0:1], off
	v_cvt_f32_f64_e32 v2, v[2:3]
	v_mov_b32_e32 v1, s13
	v_cvt_f32_f64_e32 v3, v[6:7]
	v_add_co_u32_e32 v0, vcc, s14, v4
	v_addc_co_u32_e32 v1, vcc, v5, v1, vcc
	global_store_dwordx2 v[0:1], v[2:3], off
	s_and_b64 exec, exec, s[0:1]
	s_cbranch_execz .LBB0_23
; %bb.22:
	global_load_dwordx2 v[6:7], v[88:89], off offset:960
	v_add_u32_e32 v10, 0x1c0, v144
	ds_read2st64_b64 v[2:5], v10 offset0:1 offset1:4
	v_mov_b32_e32 v11, s5
	s_waitcnt vmcnt(0) lgkmcnt(0)
	v_mul_f32_e32 v8, v3, v7
	v_mul_f32_e32 v7, v2, v7
	v_fmac_f32_e32 v8, v2, v6
	v_fma_f32 v6, v6, v3, -v7
	v_cvt_f64_f32_e32 v[2:3], v8
	v_cvt_f64_f32_e32 v[6:7], v6
	v_mov_b32_e32 v8, 0xffffcdc0
	v_mad_u64_u32 v[0:1], s[0:1], s8, v8, v[0:1]
	v_mul_f64 v[2:3], v[2:3], s[2:3]
	v_mul_f64 v[6:7], v[6:7], s[2:3]
	s_mul_i32 s0, s9, 0xffffcdc0
	s_sub_i32 s0, s0, s8
	v_add_u32_e32 v1, s0, v1
	v_cvt_f32_f64_e32 v2, v[2:3]
	v_cvt_f32_f64_e32 v3, v[6:7]
	global_store_dwordx2 v[0:1], v[2:3], off
	global_load_dwordx2 v[2:3], v[88:89], off offset:2496
	s_waitcnt vmcnt(0)
	v_mul_f32_e32 v6, v5, v3
	v_mul_f32_e32 v3, v4, v3
	v_fmac_f32_e32 v6, v4, v2
	v_fma_f32 v4, v2, v5, -v3
	v_cvt_f64_f32_e32 v[2:3], v6
	v_cvt_f64_f32_e32 v[4:5], v4
	v_mul_f64 v[2:3], v[2:3], s[2:3]
	v_mul_f64 v[4:5], v[4:5], s[2:3]
	v_cvt_f32_f64_e32 v2, v[2:3]
	v_cvt_f32_f64_e32 v3, v[4:5]
	v_add_co_u32_e32 v4, vcc, s4, v0
	v_addc_co_u32_e32 v5, vcc, v1, v11, vcc
	global_store_dwordx2 v[4:5], v[2:3], off
	global_load_dwordx2 v[6:7], v[88:89], off offset:4032
	ds_read2st64_b64 v[0:3], v10 offset0:7 offset1:10
	s_waitcnt vmcnt(0) lgkmcnt(0)
	v_mul_f32_e32 v8, v1, v7
	v_mul_f32_e32 v7, v0, v7
	v_fmac_f32_e32 v8, v0, v6
	v_fma_f32 v6, v6, v1, -v7
	v_cvt_f64_f32_e32 v[0:1], v8
	v_cvt_f64_f32_e32 v[6:7], v6
	v_add_co_u32_e32 v8, vcc, s10, v88
	v_mul_f64 v[0:1], v[0:1], s[2:3]
	v_mul_f64 v[6:7], v[6:7], s[2:3]
	v_addc_co_u32_e32 v9, vcc, 0, v89, vcc
	v_add_co_u32_e32 v4, vcc, s4, v4
	v_addc_co_u32_e32 v5, vcc, v5, v11, vcc
	v_cvt_f32_f64_e32 v0, v[0:1]
	v_cvt_f32_f64_e32 v1, v[6:7]
	global_store_dwordx2 v[4:5], v[0:1], off
	global_load_dwordx2 v[0:1], v[8:9], off offset:1472
	v_add_co_u32_e32 v4, vcc, s4, v4
	v_addc_co_u32_e32 v5, vcc, v5, v11, vcc
	s_waitcnt vmcnt(0)
	v_mul_f32_e32 v6, v3, v1
	v_mul_f32_e32 v1, v2, v1
	v_fmac_f32_e32 v6, v2, v0
	v_fma_f32 v2, v0, v3, -v1
	v_cvt_f64_f32_e32 v[0:1], v6
	v_cvt_f64_f32_e32 v[2:3], v2
	v_mul_f64 v[0:1], v[0:1], s[2:3]
	v_mul_f64 v[2:3], v[2:3], s[2:3]
	v_cvt_f32_f64_e32 v0, v[0:1]
	v_cvt_f32_f64_e32 v1, v[2:3]
	global_store_dwordx2 v[4:5], v[0:1], off
	global_load_dwordx2 v[6:7], v[8:9], off offset:3008
	ds_read2st64_b64 v[0:3], v10 offset0:13 offset1:16
	s_waitcnt vmcnt(0) lgkmcnt(0)
	v_mul_f32_e32 v8, v1, v7
	v_mul_f32_e32 v7, v0, v7
	v_fmac_f32_e32 v8, v0, v6
	v_fma_f32 v6, v6, v1, -v7
	v_cvt_f64_f32_e32 v[0:1], v8
	v_cvt_f64_f32_e32 v[6:7], v6
	v_add_co_u32_e32 v8, vcc, s12, v88
	v_mul_f64 v[0:1], v[0:1], s[2:3]
	v_mul_f64 v[6:7], v[6:7], s[2:3]
	v_addc_co_u32_e32 v9, vcc, 0, v89, vcc
	v_add_co_u32_e32 v4, vcc, s4, v4
	v_addc_co_u32_e32 v5, vcc, v5, v11, vcc
	v_cvt_f32_f64_e32 v0, v[0:1]
	v_cvt_f32_f64_e32 v1, v[6:7]
	global_store_dwordx2 v[4:5], v[0:1], off
	global_load_dwordx2 v[0:1], v[8:9], off offset:448
	v_add_co_u32_e32 v4, vcc, s4, v4
	v_addc_co_u32_e32 v5, vcc, v5, v11, vcc
	s_waitcnt vmcnt(0)
	v_mul_f32_e32 v6, v3, v1
	v_mul_f32_e32 v1, v2, v1
	v_fmac_f32_e32 v6, v2, v0
	v_fma_f32 v2, v0, v3, -v1
	v_cvt_f64_f32_e32 v[0:1], v6
	v_cvt_f64_f32_e32 v[2:3], v2
	v_mul_f64 v[0:1], v[0:1], s[2:3]
	v_mul_f64 v[2:3], v[2:3], s[2:3]
	v_cvt_f32_f64_e32 v0, v[0:1]
	v_cvt_f32_f64_e32 v1, v[2:3]
	global_store_dwordx2 v[4:5], v[0:1], off
	global_load_dwordx2 v[6:7], v[8:9], off offset:1984
	ds_read2st64_b64 v[0:3], v10 offset0:19 offset1:22
	v_add_co_u32_e32 v4, vcc, s4, v4
	v_addc_co_u32_e32 v5, vcc, v5, v11, vcc
	s_waitcnt vmcnt(0) lgkmcnt(0)
	v_mul_f32_e32 v12, v1, v7
	v_mul_f32_e32 v7, v0, v7
	v_fmac_f32_e32 v12, v0, v6
	v_fma_f32 v6, v6, v1, -v7
	v_cvt_f64_f32_e32 v[0:1], v12
	v_cvt_f64_f32_e32 v[6:7], v6
	v_mul_f64 v[0:1], v[0:1], s[2:3]
	v_mul_f64 v[6:7], v[6:7], s[2:3]
	v_cvt_f32_f64_e32 v0, v[0:1]
	v_cvt_f32_f64_e32 v1, v[6:7]
	global_store_dwordx2 v[4:5], v[0:1], off
	global_load_dwordx2 v[0:1], v[8:9], off offset:3520
	s_waitcnt vmcnt(0)
	v_mul_f32_e32 v6, v3, v1
	v_mul_f32_e32 v1, v2, v1
	v_fmac_f32_e32 v6, v2, v0
	v_fma_f32 v2, v0, v3, -v1
	v_cvt_f64_f32_e32 v[0:1], v6
	v_cvt_f64_f32_e32 v[2:3], v2
	v_add_co_u32_e32 v6, vcc, s11, v88
	v_mul_f64 v[0:1], v[0:1], s[2:3]
	v_mul_f64 v[2:3], v[2:3], s[2:3]
	v_addc_co_u32_e32 v7, vcc, 0, v89, vcc
	v_add_co_u32_e32 v4, vcc, s4, v4
	v_addc_co_u32_e32 v5, vcc, v5, v11, vcc
	v_cvt_f32_f64_e32 v0, v[0:1]
	v_cvt_f32_f64_e32 v1, v[2:3]
	global_store_dwordx2 v[4:5], v[0:1], off
	global_load_dwordx2 v[8:9], v[6:7], off offset:960
	ds_read2st64_b64 v[0:3], v10 offset0:25 offset1:28
	v_add_co_u32_e32 v4, vcc, s4, v4
	v_addc_co_u32_e32 v5, vcc, v5, v11, vcc
	s_waitcnt vmcnt(0) lgkmcnt(0)
	v_mul_f32_e32 v10, v1, v9
	v_mul_f32_e32 v9, v0, v9
	v_fmac_f32_e32 v10, v0, v8
	v_fma_f32 v8, v8, v1, -v9
	v_cvt_f64_f32_e32 v[0:1], v10
	v_cvt_f64_f32_e32 v[8:9], v8
	v_mul_f64 v[0:1], v[0:1], s[2:3]
	v_mul_f64 v[8:9], v[8:9], s[2:3]
	v_cvt_f32_f64_e32 v0, v[0:1]
	v_cvt_f32_f64_e32 v1, v[8:9]
	global_store_dwordx2 v[4:5], v[0:1], off
	global_load_dwordx2 v[0:1], v[6:7], off offset:2496
	s_waitcnt vmcnt(0)
	v_mul_f32_e32 v6, v3, v1
	v_mul_f32_e32 v1, v2, v1
	v_fmac_f32_e32 v6, v2, v0
	v_fma_f32 v2, v0, v3, -v1
	v_cvt_f64_f32_e32 v[0:1], v6
	v_cvt_f64_f32_e32 v[2:3], v2
	v_mul_f64 v[0:1], v[0:1], s[2:3]
	v_mul_f64 v[2:3], v[2:3], s[2:3]
	v_cvt_f32_f64_e32 v0, v[0:1]
	v_cvt_f32_f64_e32 v1, v[2:3]
	v_add_co_u32_e32 v2, vcc, s4, v4
	v_addc_co_u32_e32 v3, vcc, v5, v11, vcc
	global_store_dwordx2 v[2:3], v[0:1], off
.LBB0_23:
	s_endpgm
	.section	.rodata,"a",@progbits
	.p2align	6, 0x0
	.amdhsa_kernel bluestein_single_fwd_len1920_dim1_sp_op_CI_CI
		.amdhsa_group_segment_fixed_size 30720
		.amdhsa_private_segment_fixed_size 0
		.amdhsa_kernarg_size 104
		.amdhsa_user_sgpr_count 6
		.amdhsa_user_sgpr_private_segment_buffer 1
		.amdhsa_user_sgpr_dispatch_ptr 0
		.amdhsa_user_sgpr_queue_ptr 0
		.amdhsa_user_sgpr_kernarg_segment_ptr 1
		.amdhsa_user_sgpr_dispatch_id 0
		.amdhsa_user_sgpr_flat_scratch_init 0
		.amdhsa_user_sgpr_private_segment_size 0
		.amdhsa_uses_dynamic_stack 0
		.amdhsa_system_sgpr_private_segment_wavefront_offset 0
		.amdhsa_system_sgpr_workgroup_id_x 1
		.amdhsa_system_sgpr_workgroup_id_y 0
		.amdhsa_system_sgpr_workgroup_id_z 0
		.amdhsa_system_sgpr_workgroup_info 0
		.amdhsa_system_vgpr_workitem_id 0
		.amdhsa_next_free_vgpr 183
		.amdhsa_next_free_sgpr 20
		.amdhsa_reserve_vcc 1
		.amdhsa_reserve_flat_scratch 0
		.amdhsa_float_round_mode_32 0
		.amdhsa_float_round_mode_16_64 0
		.amdhsa_float_denorm_mode_32 3
		.amdhsa_float_denorm_mode_16_64 3
		.amdhsa_dx10_clamp 1
		.amdhsa_ieee_mode 1
		.amdhsa_fp16_overflow 0
		.amdhsa_exception_fp_ieee_invalid_op 0
		.amdhsa_exception_fp_denorm_src 0
		.amdhsa_exception_fp_ieee_div_zero 0
		.amdhsa_exception_fp_ieee_overflow 0
		.amdhsa_exception_fp_ieee_underflow 0
		.amdhsa_exception_fp_ieee_inexact 0
		.amdhsa_exception_int_div_zero 0
	.end_amdhsa_kernel
	.text
.Lfunc_end0:
	.size	bluestein_single_fwd_len1920_dim1_sp_op_CI_CI, .Lfunc_end0-bluestein_single_fwd_len1920_dim1_sp_op_CI_CI
                                        ; -- End function
	.section	.AMDGPU.csdata,"",@progbits
; Kernel info:
; codeLenInByte = 16228
; NumSgprs: 24
; NumVgprs: 183
; ScratchSize: 0
; MemoryBound: 0
; FloatMode: 240
; IeeeMode: 1
; LDSByteSize: 30720 bytes/workgroup (compile time only)
; SGPRBlocks: 2
; VGPRBlocks: 45
; NumSGPRsForWavesPerEU: 24
; NumVGPRsForWavesPerEU: 183
; Occupancy: 1
; WaveLimiterHint : 1
; COMPUTE_PGM_RSRC2:SCRATCH_EN: 0
; COMPUTE_PGM_RSRC2:USER_SGPR: 6
; COMPUTE_PGM_RSRC2:TRAP_HANDLER: 0
; COMPUTE_PGM_RSRC2:TGID_X_EN: 1
; COMPUTE_PGM_RSRC2:TGID_Y_EN: 0
; COMPUTE_PGM_RSRC2:TGID_Z_EN: 0
; COMPUTE_PGM_RSRC2:TIDIG_COMP_CNT: 0
	.type	__hip_cuid_2b0bc65df44e6215,@object ; @__hip_cuid_2b0bc65df44e6215
	.section	.bss,"aw",@nobits
	.globl	__hip_cuid_2b0bc65df44e6215
__hip_cuid_2b0bc65df44e6215:
	.byte	0                               ; 0x0
	.size	__hip_cuid_2b0bc65df44e6215, 1

	.ident	"AMD clang version 19.0.0git (https://github.com/RadeonOpenCompute/llvm-project roc-6.4.0 25133 c7fe45cf4b819c5991fe208aaa96edf142730f1d)"
	.section	".note.GNU-stack","",@progbits
	.addrsig
	.addrsig_sym __hip_cuid_2b0bc65df44e6215
	.amdgpu_metadata
---
amdhsa.kernels:
  - .args:
      - .actual_access:  read_only
        .address_space:  global
        .offset:         0
        .size:           8
        .value_kind:     global_buffer
      - .actual_access:  read_only
        .address_space:  global
        .offset:         8
        .size:           8
        .value_kind:     global_buffer
      - .actual_access:  read_only
        .address_space:  global
        .offset:         16
        .size:           8
        .value_kind:     global_buffer
      - .actual_access:  read_only
        .address_space:  global
        .offset:         24
        .size:           8
        .value_kind:     global_buffer
      - .actual_access:  read_only
        .address_space:  global
        .offset:         32
        .size:           8
        .value_kind:     global_buffer
      - .offset:         40
        .size:           8
        .value_kind:     by_value
      - .address_space:  global
        .offset:         48
        .size:           8
        .value_kind:     global_buffer
      - .address_space:  global
        .offset:         56
        .size:           8
        .value_kind:     global_buffer
      - .address_space:  global
        .offset:         64
        .size:           8
        .value_kind:     global_buffer
      - .address_space:  global
        .offset:         72
        .size:           8
        .value_kind:     global_buffer
      - .offset:         80
        .size:           4
        .value_kind:     by_value
      - .address_space:  global
        .offset:         88
        .size:           8
        .value_kind:     global_buffer
      - .address_space:  global
        .offset:         96
        .size:           8
        .value_kind:     global_buffer
    .group_segment_fixed_size: 30720
    .kernarg_segment_align: 8
    .kernarg_segment_size: 104
    .language:       OpenCL C
    .language_version:
      - 2
      - 0
    .max_flat_workgroup_size: 240
    .name:           bluestein_single_fwd_len1920_dim1_sp_op_CI_CI
    .private_segment_fixed_size: 0
    .sgpr_count:     24
    .sgpr_spill_count: 0
    .symbol:         bluestein_single_fwd_len1920_dim1_sp_op_CI_CI.kd
    .uniform_work_group_size: 1
    .uses_dynamic_stack: false
    .vgpr_count:     183
    .vgpr_spill_count: 0
    .wavefront_size: 64
amdhsa.target:   amdgcn-amd-amdhsa--gfx906
amdhsa.version:
  - 1
  - 2
...

	.end_amdgpu_metadata
